;; amdgpu-corpus repo=ROCm/rocFFT kind=compiled arch=gfx1201 opt=O3
	.text
	.amdgcn_target "amdgcn-amd-amdhsa--gfx1201"
	.amdhsa_code_object_version 6
	.protected	fft_rtc_fwd_len2000_factors_5_5_5_16_wgs_125_tpt_125_halfLds_sp_op_CI_CI_unitstride_sbrr_C2R_dirReg ; -- Begin function fft_rtc_fwd_len2000_factors_5_5_5_16_wgs_125_tpt_125_halfLds_sp_op_CI_CI_unitstride_sbrr_C2R_dirReg
	.globl	fft_rtc_fwd_len2000_factors_5_5_5_16_wgs_125_tpt_125_halfLds_sp_op_CI_CI_unitstride_sbrr_C2R_dirReg
	.p2align	8
	.type	fft_rtc_fwd_len2000_factors_5_5_5_16_wgs_125_tpt_125_halfLds_sp_op_CI_CI_unitstride_sbrr_C2R_dirReg,@function
fft_rtc_fwd_len2000_factors_5_5_5_16_wgs_125_tpt_125_halfLds_sp_op_CI_CI_unitstride_sbrr_C2R_dirReg: ; @fft_rtc_fwd_len2000_factors_5_5_5_16_wgs_125_tpt_125_halfLds_sp_op_CI_CI_unitstride_sbrr_C2R_dirReg
; %bb.0:
	s_clause 0x2
	s_load_b128 s[8:11], s[0:1], 0x0
	s_load_b128 s[4:7], s[0:1], 0x58
	;; [unrolled: 1-line block ×3, first 2 shown]
	v_mul_u32_u24_e32 v1, 0x20d, v0
	v_mov_b32_e32 v3, 0
	s_delay_alu instid0(VALU_DEP_2) | instskip(NEXT) | instid1(VALU_DEP_1)
	v_lshrrev_b32_e32 v1, 16, v1
	v_add_nc_u32_e32 v5, ttmp9, v1
	v_mov_b32_e32 v1, 0
	v_mov_b32_e32 v2, 0
	;; [unrolled: 1-line block ×3, first 2 shown]
	s_wait_kmcnt 0x0
	v_cmp_lt_u64_e64 s2, s[10:11], 2
	s_delay_alu instid0(VALU_DEP_1)
	s_and_b32 vcc_lo, exec_lo, s2
	s_cbranch_vccnz .LBB0_8
; %bb.1:
	s_load_b64 s[2:3], s[0:1], 0x10
	v_mov_b32_e32 v1, 0
	v_mov_b32_e32 v2, 0
	s_add_nc_u64 s[16:17], s[14:15], 8
	s_add_nc_u64 s[18:19], s[12:13], 8
	s_mov_b64 s[20:21], 1
	s_delay_alu instid0(VALU_DEP_1)
	v_dual_mov_b32 v33, v2 :: v_dual_mov_b32 v32, v1
	s_wait_kmcnt 0x0
	s_add_nc_u64 s[22:23], s[2:3], 8
	s_mov_b32 s3, 0
.LBB0_2:                                ; =>This Inner Loop Header: Depth=1
	s_load_b64 s[24:25], s[22:23], 0x0
                                        ; implicit-def: $vgpr36_vgpr37
	s_mov_b32 s2, exec_lo
	s_wait_kmcnt 0x0
	v_or_b32_e32 v4, s25, v6
	s_delay_alu instid0(VALU_DEP_1)
	v_cmpx_ne_u64_e32 0, v[3:4]
	s_wait_alu 0xfffe
	s_xor_b32 s26, exec_lo, s2
	s_cbranch_execz .LBB0_4
; %bb.3:                                ;   in Loop: Header=BB0_2 Depth=1
	s_cvt_f32_u32 s2, s24
	s_cvt_f32_u32 s27, s25
	s_sub_nc_u64 s[30:31], 0, s[24:25]
	s_wait_alu 0xfffe
	s_delay_alu instid0(SALU_CYCLE_1) | instskip(SKIP_1) | instid1(SALU_CYCLE_2)
	s_fmamk_f32 s2, s27, 0x4f800000, s2
	s_wait_alu 0xfffe
	v_s_rcp_f32 s2, s2
	s_delay_alu instid0(TRANS32_DEP_1) | instskip(SKIP_1) | instid1(SALU_CYCLE_2)
	s_mul_f32 s2, s2, 0x5f7ffffc
	s_wait_alu 0xfffe
	s_mul_f32 s27, s2, 0x2f800000
	s_wait_alu 0xfffe
	s_delay_alu instid0(SALU_CYCLE_2) | instskip(SKIP_1) | instid1(SALU_CYCLE_2)
	s_trunc_f32 s27, s27
	s_wait_alu 0xfffe
	s_fmamk_f32 s2, s27, 0xcf800000, s2
	s_cvt_u32_f32 s29, s27
	s_wait_alu 0xfffe
	s_delay_alu instid0(SALU_CYCLE_1) | instskip(SKIP_1) | instid1(SALU_CYCLE_2)
	s_cvt_u32_f32 s28, s2
	s_wait_alu 0xfffe
	s_mul_u64 s[34:35], s[30:31], s[28:29]
	s_wait_alu 0xfffe
	s_mul_hi_u32 s37, s28, s35
	s_mul_i32 s36, s28, s35
	s_mul_hi_u32 s2, s28, s34
	s_mul_i32 s33, s29, s34
	s_wait_alu 0xfffe
	s_add_nc_u64 s[36:37], s[2:3], s[36:37]
	s_mul_hi_u32 s27, s29, s34
	s_mul_hi_u32 s38, s29, s35
	s_add_co_u32 s2, s36, s33
	s_wait_alu 0xfffe
	s_add_co_ci_u32 s2, s37, s27
	s_mul_i32 s34, s29, s35
	s_add_co_ci_u32 s35, s38, 0
	s_wait_alu 0xfffe
	s_add_nc_u64 s[34:35], s[2:3], s[34:35]
	s_wait_alu 0xfffe
	v_add_co_u32 v4, s2, s28, s34
	s_delay_alu instid0(VALU_DEP_1) | instskip(SKIP_1) | instid1(VALU_DEP_1)
	s_cmp_lg_u32 s2, 0
	s_add_co_ci_u32 s29, s29, s35
	v_readfirstlane_b32 s28, v4
	s_wait_alu 0xfffe
	s_delay_alu instid0(VALU_DEP_1)
	s_mul_u64 s[30:31], s[30:31], s[28:29]
	s_wait_alu 0xfffe
	s_mul_hi_u32 s35, s28, s31
	s_mul_i32 s34, s28, s31
	s_mul_hi_u32 s2, s28, s30
	s_mul_i32 s33, s29, s30
	s_wait_alu 0xfffe
	s_add_nc_u64 s[34:35], s[2:3], s[34:35]
	s_mul_hi_u32 s27, s29, s30
	s_mul_hi_u32 s28, s29, s31
	s_wait_alu 0xfffe
	s_add_co_u32 s2, s34, s33
	s_add_co_ci_u32 s2, s35, s27
	s_mul_i32 s30, s29, s31
	s_add_co_ci_u32 s31, s28, 0
	s_wait_alu 0xfffe
	s_add_nc_u64 s[30:31], s[2:3], s[30:31]
	s_wait_alu 0xfffe
	v_add_co_u32 v4, s2, v4, s30
	s_delay_alu instid0(VALU_DEP_1) | instskip(SKIP_1) | instid1(VALU_DEP_1)
	s_cmp_lg_u32 s2, 0
	s_add_co_ci_u32 s2, s29, s31
	v_mul_hi_u32 v13, v5, v4
	s_wait_alu 0xfffe
	v_mad_co_u64_u32 v[7:8], null, v5, s2, 0
	v_mad_co_u64_u32 v[9:10], null, v6, v4, 0
	;; [unrolled: 1-line block ×3, first 2 shown]
	s_delay_alu instid0(VALU_DEP_3) | instskip(SKIP_1) | instid1(VALU_DEP_4)
	v_add_co_u32 v4, vcc_lo, v13, v7
	s_wait_alu 0xfffd
	v_add_co_ci_u32_e32 v7, vcc_lo, 0, v8, vcc_lo
	s_delay_alu instid0(VALU_DEP_2) | instskip(SKIP_1) | instid1(VALU_DEP_2)
	v_add_co_u32 v4, vcc_lo, v4, v9
	s_wait_alu 0xfffd
	v_add_co_ci_u32_e32 v4, vcc_lo, v7, v10, vcc_lo
	s_wait_alu 0xfffd
	v_add_co_ci_u32_e32 v7, vcc_lo, 0, v12, vcc_lo
	s_delay_alu instid0(VALU_DEP_2) | instskip(SKIP_1) | instid1(VALU_DEP_2)
	v_add_co_u32 v4, vcc_lo, v4, v11
	s_wait_alu 0xfffd
	v_add_co_ci_u32_e32 v9, vcc_lo, 0, v7, vcc_lo
	s_delay_alu instid0(VALU_DEP_2) | instskip(SKIP_1) | instid1(VALU_DEP_3)
	v_mul_lo_u32 v10, s25, v4
	v_mad_co_u64_u32 v[7:8], null, s24, v4, 0
	v_mul_lo_u32 v11, s24, v9
	s_delay_alu instid0(VALU_DEP_2) | instskip(NEXT) | instid1(VALU_DEP_2)
	v_sub_co_u32 v7, vcc_lo, v5, v7
	v_add3_u32 v8, v8, v11, v10
	s_delay_alu instid0(VALU_DEP_1) | instskip(SKIP_1) | instid1(VALU_DEP_1)
	v_sub_nc_u32_e32 v10, v6, v8
	s_wait_alu 0xfffd
	v_subrev_co_ci_u32_e64 v10, s2, s25, v10, vcc_lo
	v_add_co_u32 v11, s2, v4, 2
	s_wait_alu 0xf1ff
	v_add_co_ci_u32_e64 v12, s2, 0, v9, s2
	v_sub_co_u32 v13, s2, v7, s24
	v_sub_co_ci_u32_e32 v8, vcc_lo, v6, v8, vcc_lo
	s_wait_alu 0xf1ff
	v_subrev_co_ci_u32_e64 v10, s2, 0, v10, s2
	s_delay_alu instid0(VALU_DEP_3) | instskip(NEXT) | instid1(VALU_DEP_3)
	v_cmp_le_u32_e32 vcc_lo, s24, v13
	v_cmp_eq_u32_e64 s2, s25, v8
	s_wait_alu 0xfffd
	v_cndmask_b32_e64 v13, 0, -1, vcc_lo
	v_cmp_le_u32_e32 vcc_lo, s25, v10
	s_wait_alu 0xfffd
	v_cndmask_b32_e64 v14, 0, -1, vcc_lo
	v_cmp_le_u32_e32 vcc_lo, s24, v7
	;; [unrolled: 3-line block ×3, first 2 shown]
	s_wait_alu 0xfffd
	v_cndmask_b32_e64 v15, 0, -1, vcc_lo
	v_cmp_eq_u32_e32 vcc_lo, s25, v10
	s_wait_alu 0xf1ff
	s_delay_alu instid0(VALU_DEP_2)
	v_cndmask_b32_e64 v7, v15, v7, s2
	s_wait_alu 0xfffd
	v_cndmask_b32_e32 v10, v14, v13, vcc_lo
	v_add_co_u32 v13, vcc_lo, v4, 1
	s_wait_alu 0xfffd
	v_add_co_ci_u32_e32 v14, vcc_lo, 0, v9, vcc_lo
	s_delay_alu instid0(VALU_DEP_3) | instskip(SKIP_1) | instid1(VALU_DEP_2)
	v_cmp_ne_u32_e32 vcc_lo, 0, v10
	s_wait_alu 0xfffd
	v_cndmask_b32_e32 v8, v14, v12, vcc_lo
	v_cndmask_b32_e32 v10, v13, v11, vcc_lo
	v_cmp_ne_u32_e32 vcc_lo, 0, v7
	s_wait_alu 0xfffd
	s_delay_alu instid0(VALU_DEP_2)
	v_dual_cndmask_b32 v37, v9, v8 :: v_dual_cndmask_b32 v36, v4, v10
.LBB0_4:                                ;   in Loop: Header=BB0_2 Depth=1
	s_wait_alu 0xfffe
	s_and_not1_saveexec_b32 s2, s26
	s_cbranch_execz .LBB0_6
; %bb.5:                                ;   in Loop: Header=BB0_2 Depth=1
	v_cvt_f32_u32_e32 v4, s24
	s_sub_co_i32 s26, 0, s24
	v_mov_b32_e32 v37, v3
	s_delay_alu instid0(VALU_DEP_2) | instskip(NEXT) | instid1(TRANS32_DEP_1)
	v_rcp_iflag_f32_e32 v4, v4
	v_mul_f32_e32 v4, 0x4f7ffffe, v4
	s_delay_alu instid0(VALU_DEP_1) | instskip(SKIP_1) | instid1(VALU_DEP_1)
	v_cvt_u32_f32_e32 v4, v4
	s_wait_alu 0xfffe
	v_mul_lo_u32 v7, s26, v4
	s_delay_alu instid0(VALU_DEP_1) | instskip(NEXT) | instid1(VALU_DEP_1)
	v_mul_hi_u32 v7, v4, v7
	v_add_nc_u32_e32 v4, v4, v7
	s_delay_alu instid0(VALU_DEP_1) | instskip(NEXT) | instid1(VALU_DEP_1)
	v_mul_hi_u32 v4, v5, v4
	v_mul_lo_u32 v7, v4, s24
	v_add_nc_u32_e32 v8, 1, v4
	s_delay_alu instid0(VALU_DEP_2) | instskip(NEXT) | instid1(VALU_DEP_1)
	v_sub_nc_u32_e32 v7, v5, v7
	v_subrev_nc_u32_e32 v9, s24, v7
	v_cmp_le_u32_e32 vcc_lo, s24, v7
	s_wait_alu 0xfffd
	s_delay_alu instid0(VALU_DEP_2) | instskip(NEXT) | instid1(VALU_DEP_1)
	v_dual_cndmask_b32 v7, v7, v9 :: v_dual_cndmask_b32 v4, v4, v8
	v_cmp_le_u32_e32 vcc_lo, s24, v7
	s_delay_alu instid0(VALU_DEP_2) | instskip(SKIP_1) | instid1(VALU_DEP_1)
	v_add_nc_u32_e32 v8, 1, v4
	s_wait_alu 0xfffd
	v_cndmask_b32_e32 v36, v4, v8, vcc_lo
.LBB0_6:                                ;   in Loop: Header=BB0_2 Depth=1
	s_wait_alu 0xfffe
	s_or_b32 exec_lo, exec_lo, s2
	v_mul_lo_u32 v4, v37, s24
	s_delay_alu instid0(VALU_DEP_2)
	v_mul_lo_u32 v9, v36, s25
	s_load_b64 s[26:27], s[18:19], 0x0
	v_mad_co_u64_u32 v[7:8], null, v36, s24, 0
	s_load_b64 s[24:25], s[16:17], 0x0
	s_add_nc_u64 s[20:21], s[20:21], 1
	s_add_nc_u64 s[16:17], s[16:17], 8
	s_wait_alu 0xfffe
	v_cmp_ge_u64_e64 s2, s[20:21], s[10:11]
	s_add_nc_u64 s[18:19], s[18:19], 8
	s_add_nc_u64 s[22:23], s[22:23], 8
	v_add3_u32 v4, v8, v9, v4
	v_sub_co_u32 v5, vcc_lo, v5, v7
	s_wait_alu 0xfffd
	s_delay_alu instid0(VALU_DEP_2) | instskip(SKIP_2) | instid1(VALU_DEP_1)
	v_sub_co_ci_u32_e32 v4, vcc_lo, v6, v4, vcc_lo
	s_and_b32 vcc_lo, exec_lo, s2
	s_wait_kmcnt 0x0
	v_mul_lo_u32 v6, s26, v4
	v_mul_lo_u32 v7, s27, v5
	v_mad_co_u64_u32 v[1:2], null, s26, v5, v[1:2]
	v_mul_lo_u32 v4, s24, v4
	v_mul_lo_u32 v8, s25, v5
	v_mad_co_u64_u32 v[32:33], null, s24, v5, v[32:33]
	s_delay_alu instid0(VALU_DEP_4) | instskip(NEXT) | instid1(VALU_DEP_2)
	v_add3_u32 v2, v7, v2, v6
	v_add3_u32 v33, v8, v33, v4
	s_wait_alu 0xfffe
	s_cbranch_vccnz .LBB0_9
; %bb.7:                                ;   in Loop: Header=BB0_2 Depth=1
	v_dual_mov_b32 v5, v36 :: v_dual_mov_b32 v6, v37
	s_branch .LBB0_2
.LBB0_8:
	v_dual_mov_b32 v33, v2 :: v_dual_mov_b32 v32, v1
	v_dual_mov_b32 v37, v6 :: v_dual_mov_b32 v36, v5
.LBB0_9:
	s_load_b64 s[0:1], s[0:1], 0x28
	v_mul_hi_u32 v3, 0x20c49bb, v0
	s_lshl_b64 s[10:11], s[10:11], 3
                                        ; implicit-def: $vgpr34
	s_wait_alu 0xfffe
	s_add_nc_u64 s[2:3], s[14:15], s[10:11]
	s_wait_kmcnt 0x0
	v_cmp_gt_u64_e32 vcc_lo, s[0:1], v[36:37]
	v_cmp_le_u64_e64 s0, s[0:1], v[36:37]
	s_delay_alu instid0(VALU_DEP_1)
	s_and_saveexec_b32 s1, s0
	s_wait_alu 0xfffe
	s_xor_b32 s0, exec_lo, s1
; %bb.10:
	v_mul_u32_u24_e32 v1, 0x7d, v3
                                        ; implicit-def: $vgpr3
	s_delay_alu instid0(VALU_DEP_1)
	v_sub_nc_u32_e32 v34, v0, v1
                                        ; implicit-def: $vgpr0
                                        ; implicit-def: $vgpr1_vgpr2
; %bb.11:
	s_wait_alu 0xfffe
	s_or_saveexec_b32 s1, s0
	s_load_b64 s[2:3], s[2:3], 0x0
	s_xor_b32 exec_lo, exec_lo, s1
	s_cbranch_execz .LBB0_15
; %bb.12:
	s_add_nc_u64 s[10:11], s[12:13], s[10:11]
	v_lshlrev_b64_e32 v[1:2], 3, v[1:2]
	s_load_b64 s[10:11], s[10:11], 0x0
	s_wait_kmcnt 0x0
	v_mul_lo_u32 v6, s11, v36
	v_mul_lo_u32 v7, s10, v37
	v_mad_co_u64_u32 v[4:5], null, s10, v36, 0
	s_delay_alu instid0(VALU_DEP_1) | instskip(SKIP_1) | instid1(VALU_DEP_2)
	v_add3_u32 v5, v5, v7, v6
	v_mul_u32_u24_e32 v6, 0x7d, v3
	v_lshlrev_b64_e32 v[3:4], 3, v[4:5]
	s_delay_alu instid0(VALU_DEP_2) | instskip(NEXT) | instid1(VALU_DEP_1)
	v_sub_nc_u32_e32 v34, v0, v6
	v_lshlrev_b32_e32 v35, 3, v34
	s_delay_alu instid0(VALU_DEP_3) | instskip(SKIP_1) | instid1(VALU_DEP_4)
	v_add_co_u32 v0, s0, s4, v3
	s_wait_alu 0xf1ff
	v_add_co_ci_u32_e64 v3, s0, s5, v4, s0
	s_mov_b32 s4, exec_lo
	s_delay_alu instid0(VALU_DEP_2) | instskip(SKIP_1) | instid1(VALU_DEP_2)
	v_add_co_u32 v0, s0, v0, v1
	s_wait_alu 0xf1ff
	v_add_co_ci_u32_e64 v1, s0, v3, v2, s0
	s_delay_alu instid0(VALU_DEP_2) | instskip(SKIP_1) | instid1(VALU_DEP_2)
	v_add_co_u32 v2, s0, v0, v35
	s_wait_alu 0xf1ff
	v_add_co_ci_u32_e64 v3, s0, 0, v1, s0
	s_clause 0xf
	global_load_b64 v[4:5], v[2:3], off
	global_load_b64 v[6:7], v[2:3], off offset:1000
	global_load_b64 v[8:9], v[2:3], off offset:2000
	;; [unrolled: 1-line block ×15, first 2 shown]
	v_add_nc_u32_e32 v35, 0, v35
	s_delay_alu instid0(VALU_DEP_1)
	v_add_nc_u32_e32 v40, 0x400, v35
	v_add_nc_u32_e32 v41, 0xc00, v35
	;; [unrolled: 1-line block ×7, first 2 shown]
	s_wait_loadcnt 0xe
	ds_store_2addr_b64 v35, v[4:5], v[6:7] offset1:125
	s_wait_loadcnt 0xc
	ds_store_2addr_b64 v40, v[8:9], v[10:11] offset0:122 offset1:247
	s_wait_loadcnt 0xa
	ds_store_2addr_b64 v41, v[12:13], v[14:15] offset0:116 offset1:241
	s_wait_loadcnt 0x8
	ds_store_2addr_b64 v42, v[16:17], v[18:19] offset0:110 offset1:235
	s_wait_loadcnt 0x6
	ds_store_2addr_b64 v43, v[20:21], v[22:23] offset0:104 offset1:229
	s_wait_loadcnt 0x4
	ds_store_2addr_b64 v44, v[24:25], v[26:27] offset0:98 offset1:223
	s_wait_loadcnt 0x2
	ds_store_2addr_b64 v45, v[28:29], v[30:31] offset0:92 offset1:217
	s_wait_loadcnt 0x0
	ds_store_2addr_b64 v46, v[38:39], v[2:3] offset0:86 offset1:211
	v_cmpx_eq_u32_e32 0x7c, v34
	s_cbranch_execz .LBB0_14
; %bb.13:
	global_load_b64 v[0:1], v[0:1], off offset:16000
	v_mov_b32_e32 v2, 0
	v_mov_b32_e32 v34, 0x7c
	s_wait_loadcnt 0x0
	ds_store_b64 v2, v[0:1] offset:16000
.LBB0_14:
	s_wait_alu 0xfffe
	s_or_b32 exec_lo, exec_lo, s4
.LBB0_15:
	s_delay_alu instid0(SALU_CYCLE_1)
	s_or_b32 exec_lo, exec_lo, s1
	v_lshlrev_b32_e32 v0, 3, v34
	global_wb scope:SCOPE_SE
	s_wait_dscnt 0x0
	s_wait_kmcnt 0x0
	s_barrier_signal -1
	s_barrier_wait -1
	global_inv scope:SCOPE_SE
	v_add_nc_u32_e32 v46, 0, v0
	v_sub_nc_u32_e32 v4, 0, v0
	s_mov_b32 s1, exec_lo
                                        ; implicit-def: $vgpr2_vgpr3
	ds_load_b32 v5, v46
	ds_load_b32 v6, v4 offset:16000
	s_wait_dscnt 0x0
	v_dual_sub_f32 v1, v5, v6 :: v_dual_add_f32 v0, v6, v5
	v_cmpx_ne_u32_e32 0, v34
	s_wait_alu 0xfffe
	s_xor_b32 s1, exec_lo, s1
	s_cbranch_execz .LBB0_17
; %bb.16:
	v_dual_mov_b32 v35, 0 :: v_dual_sub_f32 v8, v5, v6
	s_delay_alu instid0(VALU_DEP_1) | instskip(NEXT) | instid1(VALU_DEP_1)
	v_lshlrev_b64_e32 v[0:1], 3, v[34:35]
	v_add_co_u32 v0, s0, s8, v0
	s_wait_alu 0xf1ff
	s_delay_alu instid0(VALU_DEP_2)
	v_add_co_ci_u32_e64 v1, s0, s9, v1, s0
	global_load_b64 v[2:3], v[0:1], off offset:15960
	ds_load_b32 v0, v4 offset:16004
	ds_load_b32 v1, v46 offset:4
	v_add_f32_e32 v7, v6, v5
	s_wait_dscnt 0x0
	v_dual_add_f32 v9, v0, v1 :: v_dual_sub_f32 v0, v1, v0
	s_wait_loadcnt 0x0
	s_delay_alu instid0(VALU_DEP_2) | instskip(NEXT) | instid1(VALU_DEP_2)
	v_fma_f32 v5, -v8, v3, v7
	v_fma_f32 v6, v9, v3, -v0
	v_fma_f32 v10, v8, v3, v7
	v_fma_f32 v1, v9, v3, v0
	s_delay_alu instid0(VALU_DEP_3) | instskip(NEXT) | instid1(VALU_DEP_3)
	v_dual_fmac_f32 v5, v2, v9 :: v_dual_fmac_f32 v6, v8, v2
	v_fma_f32 v0, -v2, v9, v10
	s_delay_alu instid0(VALU_DEP_3)
	v_dual_fmac_f32 v1, v8, v2 :: v_dual_mov_b32 v2, v34
	v_mov_b32_e32 v3, v35
	ds_store_b64 v4, v[5:6] offset:16000
.LBB0_17:
	s_wait_alu 0xfffe
	s_and_not1_saveexec_b32 s0, s1
	s_cbranch_execz .LBB0_19
; %bb.18:
	v_mov_b32_e32 v7, 0
	ds_load_b64 v[2:3], v7 offset:8000
	s_wait_dscnt 0x0
	v_dual_mul_f32 v6, -2.0, v3 :: v_dual_add_f32 v5, v2, v2
	v_mov_b32_e32 v2, 0
	v_mov_b32_e32 v3, 0
	ds_store_b64 v7, v[5:6] offset:8000
.LBB0_19:
	s_wait_alu 0xfffe
	s_or_b32 exec_lo, exec_lo, s0
	v_lshlrev_b64_e32 v[2:3], 3, v[2:3]
	s_add_nc_u64 s[0:1], s[8:9], 0x3e58
	v_add_nc_u32_e32 v28, 0x1400, v46
	s_wait_alu 0xfffe
	s_delay_alu instid0(VALU_DEP_2)
	v_add_co_u32 v2, s0, s0, v2
	s_wait_alu 0xf1ff
	v_add_co_ci_u32_e64 v3, s0, s1, v3, s0
	s_clause 0x6
	global_load_b64 v[5:6], v[2:3], off offset:1000
	global_load_b64 v[7:8], v[2:3], off offset:2000
	;; [unrolled: 1-line block ×7, first 2 shown]
	ds_store_b64 v46, v[0:1]
	ds_load_b64 v[0:1], v46 offset:1000
	ds_load_b64 v[17:18], v4 offset:15000
	v_cmp_gt_u32_e64 s0, 25, v34
	s_wait_dscnt 0x0
	v_add_f32_e32 v19, v0, v17
	v_add_f32_e32 v20, v18, v1
	v_dual_sub_f32 v21, v0, v17 :: v_dual_sub_f32 v0, v1, v18
	s_wait_loadcnt 0x6
	s_delay_alu instid0(VALU_DEP_1) | instskip(NEXT) | instid1(VALU_DEP_2)
	v_fma_f32 v22, v21, v6, v19
	v_fma_f32 v1, v20, v6, v0
	v_fma_f32 v17, -v21, v6, v19
	v_fma_f32 v18, v20, v6, -v0
	s_delay_alu instid0(VALU_DEP_4) | instskip(NEXT) | instid1(VALU_DEP_4)
	v_fma_f32 v0, -v5, v20, v22
	v_fmac_f32_e32 v1, v21, v5
	s_delay_alu instid0(VALU_DEP_4) | instskip(NEXT) | instid1(VALU_DEP_4)
	v_fmac_f32_e32 v17, v5, v20
	v_fmac_f32_e32 v18, v21, v5
	ds_store_b64 v46, v[0:1] offset:1000
	ds_store_b64 v4, v[17:18] offset:15000
	ds_load_b64 v[0:1], v46 offset:2000
	ds_load_b64 v[5:6], v4 offset:14000
	s_wait_dscnt 0x0
	v_add_f32_e32 v17, v0, v5
	v_add_f32_e32 v18, v6, v1
	v_dual_sub_f32 v19, v0, v5 :: v_dual_sub_f32 v0, v1, v6
	s_wait_loadcnt 0x5
	s_delay_alu instid0(VALU_DEP_1) | instskip(NEXT) | instid1(VALU_DEP_2)
	v_fma_f32 v20, v19, v8, v17
	v_fma_f32 v1, v18, v8, v0
	v_fma_f32 v5, -v19, v8, v17
	v_fma_f32 v6, v18, v8, -v0
	s_delay_alu instid0(VALU_DEP_4) | instskip(NEXT) | instid1(VALU_DEP_4)
	v_fma_f32 v0, -v7, v18, v20
	v_fmac_f32_e32 v1, v19, v7
	s_delay_alu instid0(VALU_DEP_4) | instskip(NEXT) | instid1(VALU_DEP_4)
	v_fmac_f32_e32 v5, v7, v18
	v_fmac_f32_e32 v6, v19, v7
	ds_store_b64 v46, v[0:1] offset:2000
	ds_store_b64 v4, v[5:6] offset:14000
	ds_load_b64 v[0:1], v46 offset:3000
	ds_load_b64 v[5:6], v4 offset:13000
	;; [unrolled: 20-line block ×3, first 2 shown]
	v_add_nc_u32_e32 v17, 0x3000, v46
	s_wait_dscnt 0x0
	v_dual_add_f32 v7, v0, v5 :: v_dual_add_nc_u32 v18, 0x2000, v46
	v_add_f32_e32 v8, v6, v1
	v_dual_sub_f32 v9, v0, v5 :: v_dual_sub_f32 v0, v1, v6
	s_wait_loadcnt 0x3
	s_delay_alu instid0(VALU_DEP_1) | instskip(NEXT) | instid1(VALU_DEP_2)
	v_fma_f32 v10, v9, v12, v7
	v_fma_f32 v1, v8, v12, v0
	v_fma_f32 v5, -v9, v12, v7
	v_fma_f32 v6, v8, v12, -v0
	s_delay_alu instid0(VALU_DEP_4) | instskip(NEXT) | instid1(VALU_DEP_4)
	v_fma_f32 v0, -v11, v8, v10
	v_fmac_f32_e32 v1, v9, v11
	s_delay_alu instid0(VALU_DEP_3)
	v_dual_fmac_f32 v5, v11, v8 :: v_dual_fmac_f32 v6, v9, v11
	ds_store_b64 v46, v[0:1] offset:4000
	ds_store_b64 v4, v[5:6] offset:12000
	ds_load_b64 v[0:1], v46 offset:5000
	ds_load_b64 v[5:6], v4 offset:11000
	s_wait_dscnt 0x0
	v_add_f32_e32 v7, v0, v5
	v_add_f32_e32 v8, v6, v1
	v_dual_sub_f32 v9, v0, v5 :: v_dual_sub_f32 v0, v1, v6
	s_wait_loadcnt 0x2
	s_delay_alu instid0(VALU_DEP_1) | instskip(NEXT) | instid1(VALU_DEP_2)
	v_fma_f32 v10, v9, v14, v7
	v_fma_f32 v1, v8, v14, v0
	v_fma_f32 v5, -v9, v14, v7
	v_fma_f32 v6, v8, v14, -v0
	s_delay_alu instid0(VALU_DEP_4) | instskip(NEXT) | instid1(VALU_DEP_4)
	v_fma_f32 v0, -v13, v8, v10
	v_fmac_f32_e32 v1, v9, v13
	s_delay_alu instid0(VALU_DEP_4) | instskip(NEXT) | instid1(VALU_DEP_4)
	v_fmac_f32_e32 v5, v13, v8
	v_fmac_f32_e32 v6, v9, v13
	ds_store_b64 v46, v[0:1] offset:5000
	ds_store_b64 v4, v[5:6] offset:11000
	ds_load_b64 v[0:1], v46 offset:6000
	ds_load_b64 v[5:6], v4 offset:10000
	s_wait_dscnt 0x0
	v_add_f32_e32 v7, v0, v5
	v_add_f32_e32 v8, v6, v1
	v_dual_sub_f32 v9, v0, v5 :: v_dual_sub_f32 v0, v1, v6
	s_wait_loadcnt 0x1
	s_delay_alu instid0(VALU_DEP_1) | instskip(NEXT) | instid1(VALU_DEP_2)
	v_fma_f32 v10, v9, v16, v7
	v_fma_f32 v1, v8, v16, v0
	v_fma_f32 v5, -v9, v16, v7
	v_fma_f32 v6, v8, v16, -v0
	v_add_nc_u32_e32 v16, 0x1800, v46
	v_fma_f32 v0, -v15, v8, v10
	v_fmac_f32_e32 v1, v9, v15
	s_delay_alu instid0(VALU_DEP_4)
	v_dual_fmac_f32 v5, v15, v8 :: v_dual_fmac_f32 v6, v9, v15
	ds_store_b64 v46, v[0:1] offset:6000
	ds_store_b64 v4, v[5:6] offset:10000
	ds_load_b64 v[0:1], v46 offset:7000
	ds_load_b64 v[5:6], v4 offset:9000
	s_wait_dscnt 0x0
	v_add_f32_e32 v7, v0, v5
	v_sub_f32_e32 v9, v0, v5
	v_add_f32_e32 v8, v6, v1
	v_sub_f32_e32 v0, v1, v6
	s_wait_loadcnt 0x0
	s_delay_alu instid0(VALU_DEP_3) | instskip(SKIP_1) | instid1(VALU_DEP_3)
	v_fma_f32 v10, v9, v3, v7
	v_fma_f32 v5, -v9, v3, v7
	v_fma_f32 v1, v8, v3, v0
	s_delay_alu instid0(VALU_DEP_1) | instskip(SKIP_3) | instid1(VALU_DEP_3)
	v_fmac_f32_e32 v1, v9, v2
	v_fma_f32 v6, v8, v3, -v0
	v_fma_f32 v0, -v2, v8, v10
	v_add_nc_u32_e32 v3, 0xc00, v46
	v_dual_fmac_f32 v5, v2, v8 :: v_dual_fmac_f32 v6, v9, v2
	v_add_nc_u32_e32 v2, 0x2400, v46
	ds_store_b64 v46, v[0:1] offset:7000
	ds_store_b64 v4, v[5:6] offset:9000
	global_wb scope:SCOPE_SE
	s_wait_dscnt 0x0
	s_barrier_signal -1
	s_barrier_wait -1
	global_inv scope:SCOPE_SE
	global_wb scope:SCOPE_SE
	s_barrier_signal -1
	s_barrier_wait -1
	global_inv scope:SCOPE_SE
	ds_load_2addr_b64 v[4:7], v46 offset1:125
	ds_load_2addr_b64 v[20:23], v3 offset0:16 offset1:141
	ds_load_2addr_b64 v[24:27], v16 offset0:32 offset1:157
	;; [unrolled: 1-line block ×4, first 2 shown]
	v_lshlrev_b32_e32 v0, 5, v34
	v_add_nc_u32_e32 v1, 0x400, v46
	v_add_nc_u32_e32 v35, 0x2c00, v46
	;; [unrolled: 1-line block ×3, first 2 shown]
	s_delay_alu instid0(VALU_DEP_4)
	v_add_nc_u32_e32 v19, v46, v0
	s_wait_dscnt 0x2
	v_dual_add_f32 v59, v5, v21 :: v_dual_sub_f32 v58, v24, v20
	s_wait_dscnt 0x1
	v_sub_f32_e32 v62, v24, v12
	s_wait_dscnt 0x0
	v_add_f32_e32 v76, v23, v11
	v_sub_f32_e32 v56, v8, v12
	ds_load_2addr_b64 v[0:3], v1 offset0:122 offset1:247
	ds_load_2addr_b64 v[28:31], v28 offset0:10 offset1:135
	;; [unrolled: 1-line block ×5, first 2 shown]
	v_dual_add_f32 v35, v4, v20 :: v_dual_sub_f32 v68, v27, v15
	v_sub_f32_e32 v52, v20, v24
	v_dual_add_f32 v57, v20, v8 :: v_dual_sub_f32 v74, v26, v14
	v_dual_sub_f32 v61, v20, v8 :: v_dual_add_f32 v20, v6, v22
	v_dual_add_f32 v51, v24, v12 :: v_dual_add_f32 v70, v22, v10
	v_sub_f32_e32 v54, v21, v9
	v_dual_add_f32 v60, v25, v13 :: v_dual_add_nc_u32 v53, 0x1388, v19
	v_add_f32_e32 v64, v21, v9
	v_sub_f32_e32 v63, v21, v25
	v_sub_f32_e32 v65, v25, v21
	;; [unrolled: 1-line block ×4, first 2 shown]
	s_wait_dscnt 0x1
	v_dual_sub_f32 v71, v26, v22 :: v_dual_add_f32 v84, v39, v43
	v_dual_add_f32 v21, v7, v23 :: v_dual_add_f32 v88, v2, v30
	v_sub_f32_e32 v73, v22, v10
	v_dual_sub_f32 v75, v23, v27 :: v_dual_sub_f32 v90, v41, v45
	v_dual_sub_f32 v77, v27, v23 :: v_dual_sub_f32 v92, v40, v30
	v_add_f32_e32 v22, v0, v28
	s_wait_dscnt 0x0
	v_sub_f32_e32 v79, v29, v48
	v_dual_add_f32 v23, v1, v29 :: v_dual_sub_f32 v96, v40, v44
	v_add_f32_e32 v35, v35, v24
	v_dual_add_f32 v93, v20, v26 :: v_dual_add_f32 v20, v3, v31
	v_dual_sub_f32 v97, v31, v41 :: v_dual_sub_f32 v24, v10, v14
	v_add_f32_e32 v78, v38, v42
	v_dual_sub_f32 v80, v39, v43 :: v_dual_sub_f32 v81, v28, v38
	v_add_f32_e32 v94, v21, v27
	v_dual_add_f32 v82, v28, v47 :: v_dual_sub_f32 v83, v38, v28
	v_dual_sub_f32 v85, v28, v47 :: v_dual_sub_f32 v86, v38, v42
	v_add_f32_e32 v38, v22, v38
	v_sub_f32_e32 v28, v29, v39
	v_dual_add_f32 v87, v29, v48 :: v_dual_sub_f32 v98, v31, v50
	v_sub_f32_e32 v29, v39, v29
	v_dual_add_f32 v89, v40, v44 :: v_dual_sub_f32 v100, v30, v49
	v_sub_f32_e32 v91, v30, v40
	v_add_f32_e32 v59, v59, v25
	v_dual_add_f32 v39, v23, v39 :: v_dual_add_f32 v40, v88, v40
	v_add_f32_e32 v88, v20, v41
	v_sub_f32_e32 v20, v12, v8
	v_sub_f32_e32 v22, v9, v13
	v_sub_f32_e32 v23, v13, v9
	v_fma_f32 v21, -0.5, v60, v5
	v_fma_f32 v5, -0.5, v64, v5
	v_add_f32_e32 v64, v69, v24
	v_dual_sub_f32 v24, v11, v15 :: v_dual_sub_f32 v55, v25, v13
	v_add_f32_e32 v72, v27, v15
	v_dual_add_f32 v66, v26, v14 :: v_dual_add_f32 v95, v41, v45
	v_dual_add_f32 v56, v52, v56 :: v_dual_sub_f32 v41, v41, v31
	v_dual_add_f32 v60, v63, v22 :: v_dual_add_nc_u32 v101, 0x1398, v19
	v_add_f32_e32 v58, v58, v20
	v_fma_f32 v20, -0.5, v51, v4
	v_dual_add_f32 v69, v75, v24 :: v_dual_sub_f32 v26, v42, v47
	v_add_f32_e32 v63, v65, v23
	v_sub_f32_e32 v23, v14, v10
	v_dual_sub_f32 v24, v47, v42 :: v_dual_sub_f32 v27, v48, v43
	v_dual_add_f32 v99, v30, v49 :: v_dual_add_f32 v30, v31, v50
	v_fma_f32 v4, -0.5, v57, v4
	v_fma_f32 v22, -0.5, v66, v6
	v_add_f32_e32 v66, v71, v23
	v_add_nc_u32_e32 v65, 0x2720, v19
	v_sub_f32_e32 v25, v15, v11
	v_add_f32_e32 v71, v81, v24
	v_sub_f32_e32 v31, v43, v48
	v_fma_f32 v24, -0.5, v78, v0
	v_dual_add_f32 v35, v35, v12 :: v_dual_fmamk_f32 v12, v54, 0x3f737871, v20
	v_dual_add_f32 v75, v28, v27 :: v_dual_sub_f32 v28, v50, v45
	v_add_nc_u32_e32 v57, 0x2710, v19
	v_fma_f32 v6, -0.5, v70, v6
	v_add_f32_e32 v70, v77, v25
	v_fma_f32 v23, -0.5, v72, v7
	v_fmac_f32_e32 v7, -0.5, v76
	v_fma_f32 v25, -0.5, v84, v1
	v_sub_f32_e32 v51, v49, v44
	v_fma_f32 v27, -0.5, v87, v1
	v_sub_f32_e32 v1, v44, v49
	v_dual_add_f32 v81, v97, v28 :: v_dual_add_f32 v38, v38, v42
	v_fmamk_f32 v28, v55, 0xbf737871, v4
	v_fmac_f32_e32 v4, 0x3f737871, v55
	v_add_f32_e32 v76, v29, v31
	v_sub_f32_e32 v29, v45, v50
	v_add_f32_e32 v72, v83, v26
	v_fma_f32 v26, -0.5, v82, v0
	v_fma_f32 v0, -0.5, v89, v2
	;; [unrolled: 1-line block ×3, first 2 shown]
	v_add_f32_e32 v82, v41, v29
	v_dual_fmac_f32 v20, 0xbf737871, v54 :: v_dual_add_f32 v41, v59, v13
	v_dual_add_f32 v59, v93, v14 :: v_dual_fmamk_f32 v52, v86, 0x3f737871, v27
	v_fmamk_f32 v14, v67, 0x3f737871, v22
	v_fmac_f32_e32 v22, 0xbf737871, v67
	v_add_f32_e32 v78, v92, v1
	v_fma_f32 v1, -0.5, v95, v3
	v_dual_fmac_f32 v3, -0.5, v30 :: v_dual_add_f32 v84, v40, v44
	v_dual_add_f32 v77, v91, v51 :: v_dual_fmamk_f32 v30, v68, 0xbf737871, v6
	v_fmamk_f32 v13, v61, 0xbf737871, v21
	v_dual_fmac_f32 v21, 0x3f737871, v61 :: v_dual_fmamk_f32 v44, v79, 0x3f737871, v24
	v_dual_add_f32 v83, v94, v15 :: v_dual_fmac_f32 v28, 0x3f167918, v54
	v_dual_fmamk_f32 v15, v73, 0xbf737871, v23 :: v_dual_add_f32 v10, v59, v10
	v_dual_fmac_f32 v23, 0x3f737871, v73 :: v_dual_fmamk_f32 v40, v98, 0x3f737871, v0
	v_fmamk_f32 v31, v74, 0x3f737871, v7
	v_dual_add_f32 v39, v39, v43 :: v_dual_fmac_f32 v4, 0xbf167918, v54
	v_dual_fmac_f32 v7, 0xbf737871, v74 :: v_dual_fmac_f32 v24, 0xbf737871, v79
	v_dual_fmamk_f32 v29, v62, 0x3f737871, v5 :: v_dual_add_f32 v8, v35, v8
	v_dual_fmac_f32 v5, 0xbf737871, v62 :: v_dual_fmamk_f32 v42, v90, 0xbf737871, v2
	v_fmamk_f32 v51, v80, 0xbf737871, v26
	v_fmac_f32_e32 v26, 0x3f737871, v80
	v_fmac_f32_e32 v27, 0xbf737871, v86
	v_dual_fmac_f32 v20, 0xbf167918, v55 :: v_dual_add_f32 v9, v41, v9
	v_fmac_f32_e32 v0, 0xbf737871, v98
	v_fmac_f32_e32 v2, 0x3f737871, v90
	v_fmamk_f32 v41, v100, 0xbf737871, v1
	v_fmac_f32_e32 v1, 0x3f737871, v100
	v_fmamk_f32 v43, v96, 0x3f737871, v3
	v_fmac_f32_e32 v3, 0xbf737871, v96
	v_dual_fmac_f32 v6, 0x3f737871, v68 :: v_dual_add_f32 v87, v88, v45
	v_fmac_f32_e32 v12, 0x3f167918, v55
	v_fmamk_f32 v45, v85, 0xbf737871, v25
	v_fmac_f32_e32 v25, 0x3f737871, v85
	v_dual_fmac_f32 v13, 0xbf167918, v62 :: v_dual_fmac_f32 v22, 0xbf167918, v68
	v_dual_fmac_f32 v51, 0x3f167918, v79 :: v_dual_fmac_f32 v42, 0x3f167918, v98
	v_dual_add_f32 v48, v39, v48 :: v_dual_fmac_f32 v7, 0x3f167918, v73
	v_dual_fmac_f32 v40, 0x3f167918, v90 :: v_dual_fmac_f32 v27, 0x3f167918, v85
	v_dual_fmac_f32 v0, 0xbf167918, v90 :: v_dual_fmac_f32 v41, 0xbf167918, v96
	;; [unrolled: 1-line block ×3, first 2 shown]
	v_fmac_f32_e32 v1, 0x3f167918, v96
	v_fmac_f32_e32 v3, 0x3f167918, v100
	v_dual_fmac_f32 v29, 0xbf167918, v61 :: v_dual_fmac_f32 v6, 0xbf167918, v67
	v_dual_fmac_f32 v5, 0x3f167918, v61 :: v_dual_fmac_f32 v30, 0x3f167918, v67
	;; [unrolled: 1-line block ×5, first 2 shown]
	v_dual_add_f32 v11, v83, v11 :: v_dual_fmac_f32 v44, 0x3f167918, v80
	v_dual_add_f32 v47, v38, v47 :: v_dual_fmac_f32 v52, 0xbf167918, v85
	;; [unrolled: 1-line block ×3, first 2 shown]
	v_fmac_f32_e32 v23, 0x3f167918, v74
	v_fmac_f32_e32 v25, 0x3f167918, v86
	v_dual_add_f32 v39, v87, v50 :: v_dual_fmac_f32 v12, 0x3e9e377a, v56
	v_dual_fmac_f32 v28, 0x3e9e377a, v58 :: v_dual_fmac_f32 v13, 0x3e9e377a, v60
	v_dual_fmac_f32 v27, 0x3e9e377a, v76 :: v_dual_fmac_f32 v40, 0x3e9e377a, v77
	;; [unrolled: 1-line block ×7, first 2 shown]
	v_fmac_f32_e32 v21, 0x3e9e377a, v60
	v_dual_fmac_f32 v5, 0x3e9e377a, v63 :: v_dual_fmac_f32 v14, 0x3e9e377a, v64
	v_dual_fmac_f32 v22, 0x3e9e377a, v64 :: v_dual_fmac_f32 v15, 0x3e9e377a, v69
	v_dual_fmac_f32 v30, 0x3e9e377a, v66 :: v_dual_fmac_f32 v23, 0x3e9e377a, v69
	v_dual_fmac_f32 v6, 0x3e9e377a, v66 :: v_dual_fmac_f32 v51, 0x3e9e377a, v72
	v_dual_fmac_f32 v31, 0x3e9e377a, v70 :: v_dual_fmac_f32 v44, 0x3e9e377a, v71
	v_dual_fmac_f32 v7, 0x3e9e377a, v70 :: v_dual_fmac_f32 v24, 0x3e9e377a, v71
	v_dual_fmac_f32 v26, 0x3e9e377a, v72 :: v_dual_fmac_f32 v45, 0x3e9e377a, v75
	global_wb scope:SCOPE_SE
	s_barrier_signal -1
	s_barrier_wait -1
	global_inv scope:SCOPE_SE
	v_dual_fmac_f32 v25, 0x3e9e377a, v75 :: v_dual_fmac_f32 v52, 0x3e9e377a, v76
	ds_store_2addr_b64 v19, v[8:9], v[12:13] offset1:1
	ds_store_2addr_b64 v19, v[28:29], v[4:5] offset0:2 offset1:3
	ds_store_2addr_b64 v53, v[10:11], v[14:15] offset1:1
	ds_store_2addr_b64 v101, v[30:31], v[6:7] offset1:1
	;; [unrolled: 1-line block ×4, first 2 shown]
	ds_store_b64 v19, v[20:21] offset:32
	ds_store_b64 v19, v[22:23] offset:5032
	ds_store_b64 v19, v[24:25] offset:10032
	s_and_saveexec_b32 s1, s0
	s_cbranch_execz .LBB0_21
; %bb.20:
	v_add_nc_u32_e32 v4, 0x3aa8, v19
	v_add_nc_u32_e32 v5, 0x3a98, v19
	ds_store_2addr_b64 v4, v[42:43], v[2:3] offset1:1
	ds_store_2addr_b64 v5, v[38:39], v[40:41] offset1:1
	ds_store_b64 v19, v[0:1] offset:15032
.LBB0_21:
	s_wait_alu 0xfffe
	s_or_b32 exec_lo, exec_lo, s1
	v_add_nc_u32_e32 v4, 0x600, v46
	v_add_nc_u32_e32 v19, 0x1000, v46
	;; [unrolled: 1-line block ×3, first 2 shown]
	global_wb scope:SCOPE_SE
	s_wait_dscnt 0x0
	s_barrier_signal -1
	s_barrier_wait -1
	global_inv scope:SCOPE_SE
	ds_load_2addr_b64 v[8:11], v46 offset1:125
	ds_load_2addr_b64 v[4:7], v4 offset0:58 offset1:208
	ds_load_2addr_b64 v[28:31], v16 offset0:32 offset1:157
	;; [unrolled: 1-line block ×6, first 2 shown]
	ds_load_b64 v[44:45], v46 offset:14800
	s_and_saveexec_b32 s1, s0
	s_cbranch_execz .LBB0_23
; %bb.22:
	ds_load_b64 v[38:39], v46 offset:3000
	ds_load_b64 v[40:41], v46 offset:6200
	;; [unrolled: 1-line block ×5, first 2 shown]
.LBB0_23:
	s_wait_alu 0xfffe
	s_or_b32 exec_lo, exec_lo, s1
	v_and_b32_e32 v51, 0xff, v34
	v_add_nc_u16 v49, v34, 0x7d
	s_delay_alu instid0(VALU_DEP_2) | instskip(NEXT) | instid1(VALU_DEP_1)
	v_mul_lo_u16 v35, 0xcd, v51
	v_lshrrev_b16 v83, 10, v35
	s_delay_alu instid0(VALU_DEP_1) | instskip(NEXT) | instid1(VALU_DEP_1)
	v_mul_lo_u16 v35, v83, 5
	v_sub_nc_u16 v35, v34, v35
	s_delay_alu instid0(VALU_DEP_1) | instskip(NEXT) | instid1(VALU_DEP_1)
	v_and_b32_e32 v84, 0xff, v35
	v_lshlrev_b32_e32 v35, 5, v84
	s_clause 0x1
	global_load_b128 v[55:58], v35, s[8:9]
	global_load_b128 v[59:62], v35, s[8:9] offset:16
	v_add_nc_u32_e32 v48, 0xfa, v34
	s_wait_loadcnt_dscnt 0x105
	v_dual_mul_f32 v92, v58, v28 :: v_dual_add_nc_u32 v35, 0x177, v34
	v_dual_mul_f32 v91, v56, v6 :: v_dual_and_b32 v52, 0xff, v49
	v_mul_f32_e32 v90, v56, v7
	v_mul_f32_e32 v56, v58, v29
	s_delay_alu instid0(VALU_DEP_3) | instskip(NEXT) | instid1(VALU_DEP_4)
	v_dual_fmac_f32 v92, v57, v29 :: v_dual_fmac_f32 v91, v55, v7
	v_mul_lo_u16 v47, 0xcd, v52
	s_wait_loadcnt_dscnt 0x4
	v_dual_mul_f32 v7, v60, v15 :: v_dual_and_b32 v50, 0xffff, v48
	v_mul_f32_e32 v29, v60, v14
	v_fma_f32 v90, v55, v6, -v90
	v_lshrrev_b16 v85, 10, v47
	v_and_b32_e32 v47, 0xffff, v35
	v_mul_u32_u24_e32 v54, 0xcccd, v50
	v_fma_f32 v14, v59, v14, -v7
	v_fma_f32 v28, v57, v28, -v56
	v_mul_lo_u16 v53, v85, 5
	v_mul_u32_u24_e32 v63, 0xcccd, v47
	v_lshrrev_b32_e32 v86, 18, v54
	s_wait_dscnt 0x3
	v_mul_f32_e32 v55, v62, v25
	v_fmac_f32_e32 v29, v59, v15
	v_sub_nc_u16 v64, v49, v53
	v_lshrrev_b32_e32 v53, 18, v63
	v_mul_lo_u16 v54, v86, 5
	v_fma_f32 v7, v61, v24, -v55
	v_mul_u32_u24_e32 v59, 0xc8, v86
	v_mul_f32_e32 v6, v62, v24
	v_mul_lo_u16 v63, v53, 5
	v_sub_nc_u16 v54, v48, v54
	s_delay_alu instid0(VALU_DEP_3) | instskip(NEXT) | instid1(VALU_DEP_3)
	v_dual_fmac_f32 v6, v61, v25 :: v_dual_and_b32 v87, 0xff, v64
	v_sub_nc_u16 v68, v35, v63
	s_delay_alu instid0(VALU_DEP_3) | instskip(NEXT) | instid1(VALU_DEP_3)
	v_and_b32_e32 v88, 0xffff, v54
	v_lshlrev_b32_e32 v67, 5, v87
	v_lshlrev_b32_e32 v25, 3, v84
	s_delay_alu instid0(VALU_DEP_4) | instskip(SKIP_4) | instid1(VALU_DEP_2)
	v_and_b32_e32 v54, 0xffff, v68
	global_load_b128 v[63:66], v67, s[8:9]
	v_and_b32_e32 v15, 0xffff, v83
	v_and_b32_e32 v24, 0xffff, v85
	v_lshlrev_b32_e32 v89, 5, v54
	v_mul_u32_u24_e32 v24, 0xc8, v24
	s_wait_loadcnt_dscnt 0x2
	v_mul_f32_e32 v62, v64, v20
	v_mul_u32_u24_e32 v15, 0xc8, v15
	s_delay_alu instid0(VALU_DEP_2) | instskip(NEXT) | instid1(VALU_DEP_2)
	v_fmac_f32_e32 v62, v63, v21
	v_add3_u32 v60, 0, v15, v25
	v_lshlrev_b32_e32 v15, 3, v87
	v_lshlrev_b32_e32 v25, 3, v88
	s_delay_alu instid0(VALU_DEP_2)
	v_add3_u32 v61, 0, v24, v15
	v_dual_mul_f32 v24, v66, v30 :: v_dual_lshlrev_b32 v75, 5, v88
	global_load_b128 v[67:70], v67, s[8:9] offset:16
	v_mul_f32_e32 v15, v66, v31
	v_add3_u32 v59, 0, v59, v25
	v_fmac_f32_e32 v24, v65, v31
	s_clause 0x3
	global_load_b128 v[71:74], v75, s[8:9] offset:16
	global_load_b128 v[75:78], v75, s[8:9]
	global_load_b128 v[79:82], v89, s[8:9]
	global_load_b128 v[55:58], v89, s[8:9] offset:16
	v_mul_f32_e32 v25, v64, v21
	v_fma_f32 v15, v65, v30, -v15
	global_wb scope:SCOPE_SE
	s_wait_loadcnt_dscnt 0x0
	s_barrier_signal -1
	s_barrier_wait -1
	global_inv scope:SCOPE_SE
	v_mul_f32_e32 v64, v27, v70
	v_mul_f32_e32 v30, v68, v17
	v_dual_mul_f32 v31, v68, v16 :: v_dual_mul_f32 v68, v45, v74
	v_mul_f32_e32 v65, v26, v70
	v_dual_mul_f32 v21, v23, v76 :: v_dual_mul_f32 v66, v12, v78
	v_fma_f32 v26, v26, v69, -v64
	v_mul_f32_e32 v64, v18, v72
	v_fma_f32 v20, v63, v20, -v25
	v_mul_f32_e32 v25, v22, v76
	v_mul_f32_e32 v63, v13, v78
	v_fma_f32 v30, v67, v16, -v30
	v_dual_fmac_f32 v31, v67, v17 :: v_dual_mul_f32 v16, v41, v80
	v_dual_fmac_f32 v65, v27, v69 :: v_dual_mul_f32 v70, v42, v82
	v_dual_mul_f32 v27, v19, v72 :: v_dual_fmac_f32 v66, v13, v77
	v_mul_f32_e32 v69, v44, v74
	v_dual_mul_f32 v17, v40, v80 :: v_dual_fmac_f32 v64, v19, v71
	v_fma_f32 v21, v22, v75, -v21
	v_fmac_f32_e32 v25, v23, v75
	v_mul_f32_e32 v22, v3, v56
	v_dual_mul_f32 v56, v2, v56 :: v_dual_mul_f32 v23, v1, v58
	v_fmac_f32_e32 v70, v43, v81
	v_mul_f32_e32 v58, v0, v58
	v_mul_f32_e32 v67, v43, v82
	v_fma_f32 v27, v18, v71, -v27
	v_fma_f32 v44, v44, v73, -v68
	v_dual_fmac_f32 v69, v45, v73 :: v_dual_fmac_f32 v56, v3, v55
	v_fma_f32 v16, v40, v79, -v16
	v_fmac_f32_e32 v17, v41, v79
	v_fma_f32 v40, v2, v55, -v22
	v_sub_f32_e32 v2, v90, v28
	v_fmac_f32_e32 v58, v1, v57
	v_fma_f32 v18, v42, v81, -v67
	v_fma_f32 v42, v0, v57, -v23
	v_add_f32_e32 v0, v8, v90
	v_dual_sub_f32 v3, v7, v14 :: v_dual_add_f32 v76, v24, v31
	v_dual_add_f32 v13, v90, v7 :: v_dual_add_f32 v68, v91, v6
	v_dual_sub_f32 v22, v92, v29 :: v_dual_sub_f32 v41, v14, v7
	v_sub_f32_e32 v72, v29, v6
	v_add_f32_e32 v43, v9, v91
	v_add_f32_e32 v45, v92, v29
	v_dual_sub_f32 v71, v92, v91 :: v_dual_sub_f32 v84, v25, v69
	v_dual_add_f32 v73, v2, v3 :: v_dual_add_f32 v82, v4, v21
	v_fma_f32 v3, -0.5, v68, v9
	v_add_f32_e32 v68, v20, v26
	v_sub_f32_e32 v23, v28, v90
	v_add_f32_e32 v1, v28, v14
	v_fma_f32 v12, v12, v77, -v63
	v_sub_f32_e32 v19, v91, v6
	v_sub_f32_e32 v57, v28, v14
	v_dual_sub_f32 v63, v91, v92 :: v_dual_add_f32 v80, v62, v65
	v_dual_sub_f32 v67, v6, v29 :: v_dual_add_f32 v28, v0, v28
	v_fma_f32 v2, -0.5, v13, v8
	v_add_f32_e32 v74, v23, v41
	v_fma_f32 v0, -0.5, v1, v8
	v_add_f32_e32 v8, v43, v92
	v_fma_f32 v1, -0.5, v45, v9
	v_dual_add_f32 v45, v71, v72 :: v_dual_add_f32 v92, v28, v14
	v_dual_add_f32 v13, v15, v30 :: v_dual_add_f32 v88, v21, v44
	v_dual_sub_f32 v71, v15, v20 :: v_dual_sub_f32 v72, v30, v26
	v_dual_add_f32 v43, v63, v67 :: v_dual_sub_f32 v86, v21, v12
	v_dual_add_f32 v9, v10, v20 :: v_dual_sub_f32 v94, v12, v27
	v_sub_f32_e32 v23, v20, v15
	v_dual_sub_f32 v41, v26, v30 :: v_dual_add_f32 v28, v25, v69
	v_add_f32_e32 v75, v11, v62
	v_sub_f32_e32 v79, v65, v31
	v_add_f32_e32 v91, v5, v25
	v_sub_f32_e32 v87, v44, v27
	v_sub_f32_e32 v89, v12, v21
	;; [unrolled: 1-line block ×3, first 2 shown]
	v_add_f32_e32 v21, v8, v29
	v_fma_f32 v8, -0.5, v13, v10
	v_fma_f32 v10, -0.5, v68, v10
	v_dual_add_f32 v68, v71, v72 :: v_dual_sub_f32 v77, v20, v26
	v_add_f32_e32 v96, v23, v41
	v_sub_f32_e32 v20, v62, v24
	v_dual_sub_f32 v55, v90, v7 :: v_dual_sub_f32 v78, v15, v30
	v_dual_sub_f32 v63, v62, v65 :: v_dual_sub_f32 v90, v27, v44
	v_dual_sub_f32 v67, v24, v31 :: v_dual_add_f32 v14, v66, v64
	v_dual_sub_f32 v62, v24, v62 :: v_dual_sub_f32 v81, v31, v65
	v_add_f32_e32 v95, v9, v15
	v_fma_f32 v9, -0.5, v76, v11
	v_add_f32_e32 v41, v38, v16
	v_dual_add_f32 v71, v20, v79 :: v_dual_add_f32 v20, v18, v40
	v_dual_add_f32 v76, v82, v12 :: v_dual_add_f32 v83, v12, v27
	v_add_f32_e32 v62, v62, v81
	v_sub_f32_e32 v85, v66, v64
	v_sub_f32_e32 v23, v69, v64
	v_sub_f32_e32 v29, v64, v69
	v_fmac_f32_e32 v11, -0.5, v80
	v_sub_f32_e32 v79, v16, v18
	v_fma_f32 v12, -0.5, v83, v4
	v_fma_f32 v4, -0.5, v88, v4
	v_sub_f32_e32 v81, v42, v40
	v_add_f32_e32 v83, v16, v42
	v_sub_f32_e32 v15, v25, v66
	v_dual_sub_f32 v25, v66, v25 :: v_dual_add_f32 v66, v91, v66
	v_add_f32_e32 v80, v86, v87
	v_add_f32_e32 v82, v89, v90
	v_sub_f32_e32 v86, v18, v16
	v_fma_f32 v13, -0.5, v14, v5
	v_dual_sub_f32 v14, v40, v42 :: v_dual_fmac_f32 v5, -0.5, v28
	v_sub_f32_e32 v88, v16, v42
	v_sub_f32_e32 v90, v18, v40
	;; [unrolled: 1-line block ×3, first 2 shown]
	v_fma_f32 v28, -0.5, v20, v38
	v_add_f32_e32 v20, v17, v58
	v_dual_add_f32 v41, v41, v18 :: v_dual_sub_f32 v18, v58, v56
	v_fmac_f32_e32 v38, -0.5, v83
	v_add_f32_e32 v24, v75, v24
	v_sub_f32_e32 v72, v17, v58
	v_add_f32_e32 v76, v76, v27
	v_dual_add_f32 v83, v16, v18 :: v_dual_fmamk_f32 v16, v22, 0xbf737871, v2
	v_dual_fmac_f32 v2, 0x3f737871, v22 :: v_dual_add_f32 v79, v79, v81
	v_dual_add_f32 v81, v86, v14 :: v_dual_fmamk_f32 v14, v19, 0x3f737871, v0
	v_add_f32_e32 v87, v15, v23
	v_dual_add_f32 v15, v39, v17 :: v_dual_add_f32 v18, v92, v7
	s_delay_alu instid0(VALU_DEP_4) | instskip(SKIP_1) | instid1(VALU_DEP_3)
	v_dual_add_f32 v23, v70, v56 :: v_dual_fmac_f32 v2, 0xbf167918, v19
	v_sub_f32_e32 v17, v70, v17
	v_dual_sub_f32 v75, v70, v56 :: v_dual_add_f32 v70, v15, v70
	v_dual_sub_f32 v15, v56, v58 :: v_dual_fmac_f32 v0, 0xbf737871, v19
	v_add_f32_e32 v89, v25, v29
	v_fma_f32 v29, -0.5, v23, v39
	v_dual_fmac_f32 v39, -0.5, v20 :: v_dual_fmac_f32 v14, 0x3f167918, v22
	s_delay_alu instid0(VALU_DEP_4)
	v_fmac_f32_e32 v0, 0xbf167918, v22
	v_fmamk_f32 v22, v84, 0x3f737871, v12
	v_dual_fmac_f32 v16, 0x3f167918, v19 :: v_dual_add_f32 v19, v21, v6
	v_fmamk_f32 v6, v63, 0x3f737871, v8
	v_fmac_f32_e32 v8, 0xbf737871, v63
	v_fmac_f32_e32 v12, 0xbf737871, v84
	v_dual_add_f32 v86, v17, v15 :: v_dual_fmamk_f32 v15, v55, 0xbf737871, v1
	v_dual_add_f32 v64, v66, v64 :: v_dual_fmac_f32 v1, 0x3f737871, v55
	v_fmamk_f32 v17, v57, 0x3f737871, v3
	v_dual_fmac_f32 v3, 0xbf737871, v57 :: v_dual_add_f32 v66, v41, v40
	s_delay_alu instid0(VALU_DEP_4) | instskip(NEXT) | instid1(VALU_DEP_3)
	v_dual_fmac_f32 v15, 0xbf167918, v57 :: v_dual_add_f32 v56, v70, v56
	v_dual_fmac_f32 v17, 0xbf167918, v55 :: v_dual_add_f32 v44, v76, v44
	s_delay_alu instid0(VALU_DEP_3)
	v_dual_fmac_f32 v3, 0x3f167918, v55 :: v_dual_fmac_f32 v22, 0x3f167918, v85
	v_add_f32_e32 v55, v95, v30
	v_dual_fmamk_f32 v7, v77, 0xbf737871, v9 :: v_dual_fmamk_f32 v40, v75, 0xbf737871, v38
	v_fmamk_f32 v23, v93, 0xbf737871, v13
	v_fmac_f32_e32 v13, 0x3f737871, v93
	v_fmamk_f32 v25, v94, 0x3f737871, v5
	v_fmac_f32_e32 v5, 0xbf737871, v94
	;; [unrolled: 2-line block ×3, first 2 shown]
	v_fmac_f32_e32 v38, 0x3f737871, v75
	v_dual_fmac_f32 v1, 0x3f167918, v57 :: v_dual_add_f32 v26, v55, v26
	v_dual_add_f32 v57, v24, v31 :: v_dual_fmac_f32 v14, 0x3e9e377a, v73
	v_fmamk_f32 v31, v88, 0xbf737871, v29
	v_fmac_f32_e32 v29, 0x3f737871, v88
	v_fmamk_f32 v41, v90, 0x3f737871, v39
	v_dual_fmac_f32 v39, 0xbf737871, v90 :: v_dual_fmamk_f32 v20, v67, 0xbf737871, v10
	v_dual_fmac_f32 v10, 0x3f737871, v67 :: v_dual_fmamk_f32 v21, v78, 0x3f737871, v11
	v_fmac_f32_e32 v11, 0xbf737871, v78
	v_dual_fmac_f32 v9, 0x3f737871, v77 :: v_dual_add_f32 v42, v66, v42
	v_fmamk_f32 v24, v85, 0xbf737871, v4
	v_fmac_f32_e32 v4, 0x3f737871, v85
	v_dual_fmac_f32 v13, 0x3f167918, v94 :: v_dual_fmac_f32 v30, 0x3f167918, v75
	v_dual_fmac_f32 v25, 0xbf167918, v93 :: v_dual_fmac_f32 v28, 0xbf167918, v75
	;; [unrolled: 1-line block ×4, first 2 shown]
	v_fmac_f32_e32 v29, 0x3f167918, v90
	v_fmac_f32_e32 v41, 0xbf167918, v88
	v_dual_fmac_f32 v39, 0x3f167918, v88 :: v_dual_fmac_f32 v6, 0x3f167918, v67
	v_dual_add_f32 v27, v57, v65 :: v_dual_fmac_f32 v8, 0xbf167918, v67
	v_fmac_f32_e32 v7, 0xbf167918, v78
	v_dual_fmac_f32 v20, 0x3f167918, v63 :: v_dual_fmac_f32 v9, 0x3f167918, v78
	v_dual_fmac_f32 v10, 0xbf167918, v63 :: v_dual_fmac_f32 v21, 0xbf167918, v77
	;; [unrolled: 1-line block ×6, first 2 shown]
	v_dual_fmac_f32 v4, 0xbf167918, v84 :: v_dual_add_f32 v43, v56, v58
	v_dual_fmac_f32 v5, 0x3e9e377a, v89 :: v_dual_fmac_f32 v30, 0x3e9e377a, v79
	v_dual_fmac_f32 v28, 0x3e9e377a, v79 :: v_dual_fmac_f32 v41, 0x3e9e377a, v86
	;; [unrolled: 1-line block ×4, first 2 shown]
	v_fmac_f32_e32 v39, 0x3e9e377a, v86
	v_dual_fmac_f32 v2, 0x3e9e377a, v74 :: v_dual_fmac_f32 v17, 0x3e9e377a, v45
	v_dual_fmac_f32 v3, 0x3e9e377a, v45 :: v_dual_fmac_f32 v6, 0x3e9e377a, v96
	v_dual_fmac_f32 v8, 0x3e9e377a, v96 :: v_dual_fmac_f32 v7, 0x3e9e377a, v71
	v_dual_fmac_f32 v20, 0x3e9e377a, v68 :: v_dual_fmac_f32 v9, 0x3e9e377a, v71
	v_dual_fmac_f32 v10, 0x3e9e377a, v68 :: v_dual_fmac_f32 v21, 0x3e9e377a, v62
	v_dual_fmac_f32 v11, 0x3e9e377a, v62 :: v_dual_fmac_f32 v22, 0x3e9e377a, v80
	v_dual_add_f32 v45, v64, v69 :: v_dual_fmac_f32 v12, 0x3e9e377a, v80
	v_dual_fmac_f32 v23, 0x3e9e377a, v87 :: v_dual_fmac_f32 v24, 0x3e9e377a, v82
	v_dual_fmac_f32 v13, 0x3e9e377a, v87 :: v_dual_fmac_f32 v4, 0x3e9e377a, v82
	v_fmac_f32_e32 v25, 0x3e9e377a, v89
	ds_store_2addr_b64 v60, v[18:19], v[14:15] offset1:5
	ds_store_2addr_b64 v60, v[16:17], v[2:3] offset0:10 offset1:15
	ds_store_b64 v60, v[0:1] offset:160
	ds_store_2addr_b64 v61, v[26:27], v[6:7] offset1:5
	ds_store_2addr_b64 v61, v[20:21], v[10:11] offset0:10 offset1:15
	ds_store_b64 v61, v[8:9] offset:160
	;; [unrolled: 3-line block ×3, first 2 shown]
	s_and_saveexec_b32 s1, s0
	s_cbranch_execz .LBB0_25
; %bb.24:
	v_mul_lo_u16 v0, v53, 25
	v_lshlrev_b32_e32 v1, 3, v54
	s_delay_alu instid0(VALU_DEP_2) | instskip(NEXT) | instid1(VALU_DEP_1)
	v_and_b32_e32 v0, 0xffff, v0
	v_lshlrev_b32_e32 v0, 3, v0
	s_delay_alu instid0(VALU_DEP_1)
	v_add3_u32 v0, 0, v1, v0
	ds_store_2addr_b64 v0, v[42:43], v[30:31] offset1:5
	ds_store_2addr_b64 v0, v[40:41], v[38:39] offset0:10 offset1:15
	ds_store_b64 v0, v[28:29] offset:160
.LBB0_25:
	s_wait_alu 0xfffe
	s_or_b32 exec_lo, exec_lo, s1
	v_add_nc_u32_e32 v8, 0x1800, v46
	v_add_nc_u32_e32 v0, 0x600, v46
	;; [unrolled: 1-line block ×6, first 2 shown]
	global_wb scope:SCOPE_SE
	s_wait_dscnt 0x0
	s_barrier_signal -1
	s_barrier_wait -1
	global_inv scope:SCOPE_SE
	ds_load_2addr_b64 v[4:7], v46 offset1:125
	ds_load_2addr_b64 v[0:3], v0 offset0:58 offset1:208
	ds_load_2addr_b64 v[24:27], v8 offset0:32 offset1:157
	;; [unrolled: 1-line block ×6, first 2 shown]
	ds_load_b64 v[44:45], v46 offset:14800
	s_and_saveexec_b32 s1, s0
	s_cbranch_execz .LBB0_27
; %bb.26:
	ds_load_b64 v[42:43], v46 offset:3000
	ds_load_b64 v[30:31], v46 offset:6200
	;; [unrolled: 1-line block ×5, first 2 shown]
.LBB0_27:
	s_wait_alu 0xfffe
	s_or_b32 exec_lo, exec_lo, s1
	v_mul_lo_u16 v51, v51, 41
	v_mul_u32_u24_e32 v50, 0x47af, v50
	s_delay_alu instid0(VALU_DEP_2) | instskip(SKIP_1) | instid1(VALU_DEP_3)
	v_lshrrev_b16 v75, 10, v51
	v_mul_lo_u16 v51, v52, 41
	v_lshrrev_b32_e32 v50, 16, v50
	s_delay_alu instid0(VALU_DEP_3) | instskip(NEXT) | instid1(VALU_DEP_3)
	v_mul_lo_u16 v52, v75, 25
	v_lshrrev_b16 v76, 10, v51
	s_delay_alu instid0(VALU_DEP_3) | instskip(NEXT) | instid1(VALU_DEP_3)
	v_sub_nc_u16 v67, v48, v50
	v_sub_nc_u16 v51, v34, v52
	s_delay_alu instid0(VALU_DEP_3) | instskip(NEXT) | instid1(VALU_DEP_3)
	v_mul_lo_u16 v52, v76, 25
	v_lshrrev_b16 v67, 1, v67
	s_delay_alu instid0(VALU_DEP_3) | instskip(NEXT) | instid1(VALU_DEP_3)
	v_and_b32_e32 v77, 0xff, v51
	v_sub_nc_u16 v49, v49, v52
	s_delay_alu instid0(VALU_DEP_3) | instskip(NEXT) | instid1(VALU_DEP_3)
	v_add_nc_u16 v50, v67, v50
	v_lshlrev_b32_e32 v55, 5, v77
	s_delay_alu instid0(VALU_DEP_2) | instskip(SKIP_4) | instid1(VALU_DEP_3)
	v_lshrrev_b16 v50, 4, v50
	global_load_b128 v[51:54], v55, s[8:9] offset:160
	v_and_b32_e32 v49, 0xff, v49
	v_mul_lo_u16 v67, v50, 25
	v_and_b32_e32 v50, 0xffff, v50
	v_lshlrev_b32_e32 v63, 5, v49
	s_delay_alu instid0(VALU_DEP_3) | instskip(NEXT) | instid1(VALU_DEP_3)
	v_sub_nc_u16 v48, v48, v67
	v_mul_u32_u24_e32 v50, 0x3e8, v50
	s_delay_alu instid0(VALU_DEP_2) | instskip(NEXT) | instid1(VALU_DEP_1)
	v_and_b32_e32 v48, 0xffff, v48
	v_lshlrev_b32_e32 v71, 5, v48
	v_lshlrev_b32_e32 v48, 3, v48
	s_delay_alu instid0(VALU_DEP_1)
	v_add3_u32 v48, 0, v50, v48
	s_wait_loadcnt_dscnt 0x6
	v_mul_f32_e32 v50, v52, v3
	s_clause 0x2
	global_load_b128 v[55:58], v55, s[8:9] offset:176
	global_load_b128 v[59:62], v63, s[8:9] offset:160
	;; [unrolled: 1-line block ×3, first 2 shown]
	v_and_b32_e32 v76, 0xffff, v76
	v_lshlrev_b32_e32 v49, 3, v49
	v_dual_mul_f32 v52, v52, v2 :: v_dual_and_b32 v75, 0xffff, v75
	v_lshlrev_b32_e32 v77, 3, v77
	v_fma_f32 v2, v51, v2, -v50
	s_wait_loadcnt_dscnt 0x203
	v_mul_f32_e32 v78, v58, v21
	s_wait_loadcnt_dscnt 0x102
	v_dual_mul_f32 v58, v58, v20 :: v_dual_mul_f32 v79, v60, v17
	v_mul_u32_u24_e32 v76, 0x3e8, v76
	v_mul_f32_e32 v60, v60, v16
	v_mul_u32_u24_e32 v75, 0x3e8, v75
	s_wait_loadcnt_dscnt 0x1
	v_mul_f32_e32 v81, v64, v13
	v_add3_u32 v49, 0, v76, v49
	v_mul_f32_e32 v76, v54, v25
	s_clause 0x1
	global_load_b128 v[67:70], v71, s[8:9] offset:160
	global_load_b128 v[71:74], v71, s[8:9] offset:176
	v_add3_u32 v75, 0, v75, v77
	v_dual_mul_f32 v54, v54, v24 :: v_dual_mul_f32 v77, v56, v11
	v_mul_f32_e32 v56, v56, v10
	global_wb scope:SCOPE_SE
	s_wait_loadcnt_dscnt 0x0
	s_barrier_signal -1
	v_fmac_f32_e32 v54, v53, v25
	v_fma_f32 v25, v57, v20, -v78
	v_mul_f32_e32 v64, v64, v12
	v_fmac_f32_e32 v56, v55, v11
	v_fmac_f32_e32 v52, v51, v3
	v_fma_f32 v3, v53, v24, -v76
	v_fma_f32 v24, v55, v10, -v77
	v_mul_f32_e32 v80, v62, v27
	v_mul_f32_e32 v62, v62, v26
	;; [unrolled: 1-line block ×3, first 2 shown]
	v_fmac_f32_e32 v58, v57, v21
	v_fma_f32 v10, v59, v16, -v79
	v_add_f32_e32 v21, v2, v25
	v_sub_f32_e32 v55, v2, v25
	v_dual_fmac_f32 v60, v59, v17 :: v_dual_sub_f32 v17, v25, v24
	v_sub_f32_e32 v57, v3, v24
	v_add_f32_e32 v53, v54, v56
	v_dual_mul_f32 v66, v66, v22 :: v_dual_add_f32 v51, v5, v52
	v_dual_sub_f32 v59, v52, v54 :: v_dual_fmac_f32 v62, v61, v27
	v_fmac_f32_e32 v64, v63, v13
	v_fma_f32 v20, v63, v12, -v81
	v_add_f32_e32 v13, v3, v24
	v_fma_f32 v11, v61, v26, -v80
	v_dual_fmac_f32 v66, v65, v23 :: v_dual_sub_f32 v23, v24, v25
	v_fma_f32 v26, v65, v22, -v82
	v_sub_f32_e32 v61, v58, v56
	s_delay_alu instid0(VALU_DEP_4)
	v_dual_add_f32 v77, v11, v20 :: v_dual_sub_f32 v16, v2, v3
	v_add_f32_e32 v85, v7, v60
	v_add_f32_e32 v63, v52, v58
	v_sub_f32_e32 v65, v56, v58
	v_dual_add_f32 v12, v4, v2 :: v_dual_sub_f32 v79, v62, v64
	v_dual_add_f32 v76, v6, v10 :: v_dual_add_f32 v93, v16, v17
	v_dual_add_f32 v86, v62, v64 :: v_dual_sub_f32 v27, v52, v58
	v_dual_sub_f32 v50, v54, v56 :: v_dual_sub_f32 v83, v11, v10
	v_dual_sub_f32 v22, v3, v2 :: v_dual_sub_f32 v81, v26, v20
	;; [unrolled: 1-line block ×3, first 2 shown]
	v_sub_f32_e32 v78, v60, v66
	v_dual_sub_f32 v80, v10, v11 :: v_dual_add_f32 v91, v60, v66
	v_add_f32_e32 v82, v10, v26
	v_sub_f32_e32 v84, v20, v26
	v_dual_sub_f32 v87, v10, v26 :: v_dual_sub_f32 v88, v11, v20
	v_sub_f32_e32 v90, v66, v64
	v_sub_f32_e32 v60, v62, v60
	v_sub_f32_e32 v92, v64, v66
	v_add_f32_e32 v12, v12, v3
	v_fma_f32 v2, -0.5, v13, v4
	v_fma_f32 v4, -0.5, v21, v4
	v_add_f32_e32 v13, v51, v54
	v_fma_f32 v3, -0.5, v53, v5
	v_fma_f32 v5, -0.5, v63, v5
	v_add_f32_e32 v21, v76, v11
	v_fma_f32 v11, -0.5, v86, v7
	v_dual_add_f32 v94, v22, v23 :: v_dual_add_f32 v51, v59, v61
	v_add_f32_e32 v52, v52, v65
	v_fma_f32 v10, -0.5, v77, v6
	v_add_f32_e32 v23, v85, v62
	v_dual_fmac_f32 v7, -0.5, v91 :: v_dual_add_f32 v54, v83, v84
	v_dual_add_f32 v56, v13, v56 :: v_dual_fmamk_f32 v13, v55, 0xbf737871, v3
	v_add_f32_e32 v53, v80, v81
	v_fma_f32 v6, -0.5, v82, v6
	v_add_f32_e32 v59, v89, v90
	s_barrier_wait -1
	v_fmac_f32_e32 v13, 0xbf167918, v57
	global_inv scope:SCOPE_SE
	v_fmac_f32_e32 v3, 0x3f737871, v55
	v_fmamk_f32 v17, v57, 0x3f737871, v5
	v_add_f32_e32 v76, v21, v20
	v_dual_add_f32 v64, v23, v64 :: v_dual_fmamk_f32 v23, v88, 0x3f737871, v7
	v_fmamk_f32 v21, v87, 0xbf737871, v11
	s_delay_alu instid0(VALU_DEP_4)
	v_fmac_f32_e32 v17, 0xbf167918, v55
	v_fmac_f32_e32 v11, 0x3f737871, v87
	v_dual_fmamk_f32 v16, v50, 0xbf737871, v4 :: v_dual_fmac_f32 v5, 0xbf737871, v57
	v_fmac_f32_e32 v7, 0xbf737871, v88
	v_fmac_f32_e32 v3, 0x3f167918, v57
	;; [unrolled: 1-line block ×13, first 2 shown]
	v_mul_f32_e32 v61, v19, v68
	v_add_f32_e32 v60, v60, v92
	v_dual_mul_f32 v62, v18, v68 :: v_dual_mul_f32 v63, v9, v70
	v_dual_mul_f32 v65, v8, v70 :: v_dual_mul_f32 v68, v15, v72
	v_mul_f32_e32 v70, v14, v72
	v_mul_f32_e32 v72, v45, v74
	;; [unrolled: 1-line block ×3, first 2 shown]
	s_delay_alu instid0(VALU_DEP_4)
	v_dual_add_f32 v24, v12, v24 :: v_dual_fmac_f32 v65, v9, v69
	v_fmamk_f32 v12, v27, 0x3f737871, v2
	v_dual_fmac_f32 v2, 0xbf737871, v27 :: v_dual_add_f32 v9, v56, v58
	v_fma_f32 v18, v18, v67, -v61
	v_fmac_f32_e32 v62, v19, v67
	v_fma_f32 v19, v8, v69, -v63
	v_fma_f32 v61, v14, v71, -v68
	v_fmac_f32_e32 v4, 0x3f737871, v50
	v_fmac_f32_e32 v70, v15, v71
	v_fmamk_f32 v20, v78, 0x3f737871, v10
	v_fmac_f32_e32 v10, 0xbf737871, v78
	v_fma_f32 v44, v44, v73, -v72
	v_fmamk_f32 v22, v79, 0xbf737871, v6
	v_fmac_f32_e32 v6, 0x3f737871, v79
	v_fmac_f32_e32 v74, v45, v73
	v_add_f32_e32 v8, v24, v25
	v_fmac_f32_e32 v12, 0x3f167918, v50
	v_dual_fmac_f32 v2, 0xbf167918, v50 :: v_dual_sub_f32 v57, v19, v61
	v_dual_add_f32 v15, v64, v66 :: v_dual_fmac_f32 v16, 0x3f167918, v27
	v_add_f32_e32 v55, v65, v70
	v_dual_add_f32 v25, v19, v61 :: v_dual_fmac_f32 v4, 0xbf167918, v27
	v_sub_f32_e32 v59, v74, v70
	v_dual_sub_f32 v27, v65, v70 :: v_dual_fmac_f32 v20, 0x3f167918, v79
	v_sub_f32_e32 v63, v70, v74
	v_dual_sub_f32 v45, v18, v19 :: v_dual_sub_f32 v50, v44, v61
	v_fmac_f32_e32 v10, 0xbf167918, v79
	v_sub_f32_e32 v56, v18, v44
	v_add_f32_e32 v24, v0, v18
	v_add_f32_e32 v14, v76, v26
	v_fmac_f32_e32 v12, 0x3e9e377a, v93
	v_fmac_f32_e32 v2, 0x3e9e377a, v93
	;; [unrolled: 1-line block ×3, first 2 shown]
	v_dual_fmac_f32 v20, 0x3e9e377a, v53 :: v_dual_add_f32 v51, v18, v44
	v_sub_f32_e32 v52, v19, v18
	v_sub_f32_e32 v58, v62, v65
	v_add_f32_e32 v24, v24, v19
	v_fma_f32 v18, -0.5, v25, v0
	v_dual_add_f32 v25, v45, v50 :: v_dual_fmac_f32 v10, 0x3e9e377a, v53
	v_dual_sub_f32 v53, v61, v44 :: v_dual_fmac_f32 v22, 0x3f167918, v78
	v_fmac_f32_e32 v6, 0xbf167918, v78
	v_fma_f32 v19, -0.5, v55, v1
	v_dual_fmac_f32 v4, 0x3e9e377a, v94 :: v_dual_fmac_f32 v23, 0x3e9e377a, v60
	v_dual_fmac_f32 v7, 0x3e9e377a, v60 :: v_dual_sub_f32 v26, v62, v74
	v_add_f32_e32 v60, v62, v74
	v_fma_f32 v0, -0.5, v51, v0
	v_dual_add_f32 v45, v52, v53 :: v_dual_fmac_f32 v22, 0x3e9e377a, v54
	v_dual_add_f32 v51, v58, v59 :: v_dual_fmac_f32 v6, 0x3e9e377a, v54
	ds_store_2addr_b64 v75, v[8:9], v[12:13] offset1:25
	ds_store_2addr_b64 v75, v[16:17], v[4:5] offset0:50 offset1:75
	ds_store_b64 v75, v[2:3] offset:800
	ds_store_2addr_b64 v49, v[14:15], v[20:21] offset1:25
	v_dual_fmamk_f32 v3, v56, 0xbf737871, v19 :: v_dual_add_f32 v54, v1, v62
	v_fmamk_f32 v2, v26, 0x3f737871, v18
	v_fmamk_f32 v4, v27, 0xbf737871, v0
	v_fmac_f32_e32 v0, 0x3f737871, v27
	s_delay_alu instid0(VALU_DEP_4)
	v_fmac_f32_e32 v3, 0xbf167918, v57
	v_add_f32_e32 v50, v54, v65
	v_fmac_f32_e32 v18, 0xbf737871, v26
	v_fmac_f32_e32 v2, 0x3f167918, v27
	;; [unrolled: 1-line block ×4, first 2 shown]
	v_add_f32_e32 v9, v50, v70
	v_fmac_f32_e32 v0, 0xbf167918, v26
	v_fmac_f32_e32 v18, 0xbf167918, v27
	s_delay_alu instid0(VALU_DEP_3) | instskip(SKIP_1) | instid1(VALU_DEP_4)
	v_dual_fmac_f32 v4, 0x3e9e377a, v45 :: v_dual_add_f32 v9, v9, v74
	v_fmac_f32_e32 v19, 0x3f737871, v56
	v_fmac_f32_e32 v0, 0x3e9e377a, v45
	s_delay_alu instid0(VALU_DEP_4) | instskip(NEXT) | instid1(VALU_DEP_3)
	v_fmac_f32_e32 v18, 0x3e9e377a, v25
	v_fmac_f32_e32 v19, 0x3f167918, v57
	v_fmac_f32_e32 v1, -0.5, v60
	s_delay_alu instid0(VALU_DEP_2) | instskip(NEXT) | instid1(VALU_DEP_2)
	v_fmac_f32_e32 v19, 0x3e9e377a, v51
	v_fmamk_f32 v5, v57, 0x3f737871, v1
	v_dual_fmac_f32 v1, 0xbf737871, v57 :: v_dual_sub_f32 v62, v65, v62
	s_delay_alu instid0(VALU_DEP_2) | instskip(NEXT) | instid1(VALU_DEP_2)
	v_fmac_f32_e32 v5, 0xbf167918, v56
	v_dual_fmac_f32 v1, 0x3f167918, v56 :: v_dual_add_f32 v52, v62, v63
	v_add_f32_e32 v8, v24, v61
	s_delay_alu instid0(VALU_DEP_2) | instskip(NEXT) | instid1(VALU_DEP_4)
	v_dual_fmac_f32 v2, 0x3e9e377a, v25 :: v_dual_fmac_f32 v1, 0x3e9e377a, v52
	v_fmac_f32_e32 v5, 0x3e9e377a, v52
	s_delay_alu instid0(VALU_DEP_3)
	v_add_f32_e32 v8, v8, v44
	ds_store_2addr_b64 v49, v[22:23], v[6:7] offset0:50 offset1:75
	ds_store_b64 v49, v[10:11] offset:800
	ds_store_2addr_b64 v48, v[8:9], v[2:3] offset1:25
	ds_store_2addr_b64 v48, v[4:5], v[0:1] offset0:50 offset1:75
	ds_store_b64 v48, v[18:19] offset:800
	s_and_saveexec_b32 s1, s0
	s_cbranch_execz .LBB0_29
; %bb.28:
	v_mul_u32_u24_e32 v0, 0x47af, v47
	s_delay_alu instid0(VALU_DEP_1) | instskip(NEXT) | instid1(VALU_DEP_1)
	v_lshrrev_b32_e32 v0, 16, v0
	v_sub_nc_u16 v1, v35, v0
	s_delay_alu instid0(VALU_DEP_1) | instskip(NEXT) | instid1(VALU_DEP_1)
	v_lshrrev_b16 v1, 1, v1
	v_add_nc_u16 v0, v1, v0
	s_delay_alu instid0(VALU_DEP_1) | instskip(NEXT) | instid1(VALU_DEP_1)
	v_lshrrev_b16 v0, 4, v0
	v_mul_lo_u16 v0, v0, 25
	s_delay_alu instid0(VALU_DEP_1) | instskip(NEXT) | instid1(VALU_DEP_1)
	v_sub_nc_u16 v0, v35, v0
	v_and_b32_e32 v8, 0xffff, v0
	s_delay_alu instid0(VALU_DEP_1)
	v_lshlrev_b32_e32 v4, 5, v8
	s_clause 0x1
	global_load_b128 v[0:3], v4, s[8:9] offset:160
	global_load_b128 v[4:7], v4, s[8:9] offset:176
	s_wait_loadcnt 0x1
	v_mul_f32_e32 v9, v30, v1
	s_wait_loadcnt 0x0
	v_mul_f32_e32 v13, v28, v7
	v_lshl_add_u32 v10, v8, 3, 0
	v_dual_mul_f32 v12, v38, v5 :: v_dual_mul_f32 v7, v29, v7
	v_dual_mul_f32 v8, v40, v3 :: v_dual_mul_f32 v1, v31, v1
	s_delay_alu instid0(VALU_DEP_3) | instskip(NEXT) | instid1(VALU_DEP_3)
	v_add_nc_u32_e32 v11, 0x3800, v10
	v_dual_mul_f32 v3, v41, v3 :: v_dual_fmac_f32 v12, v39, v4
	s_delay_alu instid0(VALU_DEP_3)
	v_fmac_f32_e32 v8, v41, v2
	v_fmac_f32_e32 v13, v29, v6
	;; [unrolled: 1-line block ×3, first 2 shown]
	v_fma_f32 v0, v30, v0, -v1
	v_fma_f32 v14, v28, v6, -v7
	v_mul_f32_e32 v5, v39, v5
	v_fma_f32 v6, v40, v2, -v3
	v_sub_f32_e32 v2, v12, v13
	v_sub_f32_e32 v1, v8, v9
	;; [unrolled: 1-line block ×3, first 2 shown]
	v_fma_f32 v15, v38, v4, -v5
	v_sub_f32_e32 v4, v9, v8
	v_dual_add_f32 v18, v43, v9 :: v_dual_sub_f32 v5, v13, v12
	v_dual_add_f32 v21, v0, v14 :: v_dual_add_f32 v26, v42, v0
	s_delay_alu instid0(VALU_DEP_4)
	v_dual_add_f32 v3, v9, v13 :: v_dual_sub_f32 v20, v15, v14
	v_dual_sub_f32 v17, v6, v15 :: v_dual_sub_f32 v22, v8, v12
	v_add_f32_e32 v7, v8, v12
	v_dual_sub_f32 v23, v9, v13 :: v_dual_sub_f32 v24, v14, v15
	v_dual_sub_f32 v19, v6, v0 :: v_dual_add_f32 v28, v4, v5
	v_dual_sub_f32 v9, v0, v6 :: v_dual_add_f32 v4, v18, v8
	v_fma_f32 v0, -0.5, v21, v42
	s_delay_alu instid0(VALU_DEP_3)
	v_dual_add_f32 v18, v19, v20 :: v_dual_add_f32 v25, v6, v15
	v_add_f32_e32 v27, v1, v2
	v_fma_f32 v1, -0.5, v3, v43
	v_dual_add_f32 v19, v9, v24 :: v_dual_add_f32 v8, v26, v6
	v_fma_f32 v3, -0.5, v7, v43
	v_dual_add_f32 v9, v4, v12 :: v_dual_fmamk_f32 v4, v22, 0x3f737871, v0
	v_fmac_f32_e32 v0, 0xbf737871, v22
	v_fma_f32 v2, -0.5, v25, v42
	v_dual_fmamk_f32 v5, v17, 0xbf737871, v1 :: v_dual_add_f32 v8, v8, v15
	v_fmac_f32_e32 v1, 0x3f737871, v17
	v_fmamk_f32 v7, v16, 0x3f737871, v3
	s_delay_alu instid0(VALU_DEP_4) | instskip(NEXT) | instid1(VALU_DEP_4)
	v_dual_fmac_f32 v3, 0xbf737871, v16 :: v_dual_fmamk_f32 v6, v23, 0xbf737871, v2
	v_add_f32_e32 v8, v8, v14
	v_fmac_f32_e32 v2, 0x3f737871, v23
	s_delay_alu instid0(VALU_DEP_4) | instskip(NEXT) | instid1(VALU_DEP_4)
	v_fmac_f32_e32 v7, 0x3f167918, v17
	v_fmac_f32_e32 v3, 0xbf167918, v17
	v_dual_fmac_f32 v5, 0x3f167918, v16 :: v_dual_fmac_f32 v0, 0x3f167918, v23
	s_delay_alu instid0(VALU_DEP_4) | instskip(SKIP_2) | instid1(VALU_DEP_3)
	v_fmac_f32_e32 v2, 0x3f167918, v22
	v_dual_fmac_f32 v1, 0xbf167918, v16 :: v_dual_fmac_f32 v6, 0xbf167918, v22
	v_dual_fmac_f32 v4, 0xbf167918, v23 :: v_dual_add_f32 v9, v9, v13
	v_dual_fmac_f32 v7, 0x3e9e377a, v28 :: v_dual_fmac_f32 v2, 0x3e9e377a, v19
	s_delay_alu instid0(VALU_DEP_3) | instskip(SKIP_1) | instid1(VALU_DEP_4)
	v_dual_fmac_f32 v3, 0x3e9e377a, v28 :: v_dual_fmac_f32 v6, 0x3e9e377a, v19
	v_dual_fmac_f32 v5, 0x3e9e377a, v27 :: v_dual_fmac_f32 v0, 0x3e9e377a, v18
	;; [unrolled: 1-line block ×3, first 2 shown]
	ds_store_2addr_b64 v11, v[8:9], v[2:3] offset0:83 offset1:108
	ds_store_2addr_b64 v11, v[0:1], v[4:5] offset0:133 offset1:158
	ds_store_b64 v10, v[6:7] offset:15800
.LBB0_29:
	s_wait_alu 0xfffe
	s_or_b32 exec_lo, exec_lo, s1
	v_mul_u32_u24_e32 v0, 15, v34
	global_wb scope:SCOPE_SE
	s_wait_dscnt 0x0
	s_barrier_signal -1
	s_barrier_wait -1
	global_inv scope:SCOPE_SE
	v_lshlrev_b32_e32 v28, 3, v0
	s_clause 0x7
	global_load_b128 v[0:3], v28, s[8:9] offset:960
	global_load_b128 v[4:7], v28, s[8:9] offset:976
	global_load_b128 v[8:11], v28, s[8:9] offset:992
	global_load_b128 v[12:15], v28, s[8:9] offset:1008
	global_load_b128 v[16:19], v28, s[8:9] offset:1024
	global_load_b128 v[20:23], v28, s[8:9] offset:1040
	global_load_b128 v[24:27], v28, s[8:9] offset:1056
	global_load_b64 v[67:68], v28, s[8:9] offset:1072
	v_add_nc_u32_e32 v35, 0x400, v46
	v_add_nc_u32_e32 v69, 0xc00, v46
	ds_load_2addr_b64 v[28:31], v46 offset1:125
	v_add_nc_u32_e32 v71, 0x1c00, v46
	v_add_nc_u32_e32 v73, 0x2c00, v46
	ds_load_2addr_b64 v[38:41], v35 offset0:122 offset1:247
	ds_load_2addr_b64 v[42:45], v69 offset0:116 offset1:241
	v_add_nc_u32_e32 v70, 0x1400, v46
	v_add_nc_u32_e32 v72, 0x2400, v46
	s_wait_loadcnt_dscnt 0x702
	v_dual_mul_f32 v75, v1, v31 :: v_dual_add_nc_u32 v74, 0x3400, v46
	s_wait_loadcnt_dscnt 0x601
	v_mul_f32_e32 v77, v5, v41
	s_wait_loadcnt_dscnt 0x500
	v_mul_f32_e32 v79, v45, v9
	v_mul_f32_e32 v5, v5, v40
	ds_load_2addr_b64 v[47:50], v70 offset0:110 offset1:235
	ds_load_2addr_b64 v[51:54], v71 offset0:104 offset1:229
	ds_load_2addr_b64 v[55:58], v72 offset0:98 offset1:223
	ds_load_2addr_b64 v[59:62], v73 offset0:92 offset1:217
	ds_load_2addr_b64 v[63:66], v74 offset0:86 offset1:211
	v_dual_mul_f32 v1, v1, v30 :: v_dual_mul_f32 v76, v3, v39
	v_fma_f32 v30, v0, v30, -v75
	v_mul_f32_e32 v3, v3, v38
	v_mul_f32_e32 v78, v7, v43
	;; [unrolled: 1-line block ×4, first 2 shown]
	global_wb scope:SCOPE_SE
	s_wait_loadcnt_dscnt 0x0
	s_barrier_signal -1
	s_barrier_wait -1
	global_inv scope:SCOPE_SE
	v_mul_f32_e32 v80, v48, v11
	v_mul_f32_e32 v82, v52, v15
	;; [unrolled: 1-line block ×3, first 2 shown]
	v_fmac_f32_e32 v1, v0, v31
	v_fma_f32 v0, v2, v38, -v76
	v_mul_f32_e32 v15, v51, v15
	v_fma_f32 v38, v4, v40, -v77
	v_mul_f32_e32 v11, v47, v11
	;; [unrolled: 2-line block ×3, first 2 shown]
	v_fmac_f32_e32 v15, v52, v14
	v_fma_f32 v42, v44, v8, -v79
	v_fmac_f32_e32 v11, v48, v10
	s_delay_alu instid0(VALU_DEP_3)
	v_sub_f32_e32 v15, v29, v15
	v_fmac_f32_e32 v5, v4, v41
	v_mul_f32_e32 v4, v62, v25
	v_mul_f32_e32 v25, v61, v25
	v_fmac_f32_e32 v7, v6, v43
	v_mul_f32_e32 v6, v66, v68
	v_fmac_f32_e32 v9, v45, v8
	v_fma_f32 v8, v47, v10, -v80
	v_fmac_f32_e32 v25, v62, v24
	v_fma_f32 v10, v49, v12, -v81
	v_fma_f32 v4, v61, v24, -v4
	;; [unrolled: 1-line block ×3, first 2 shown]
	s_delay_alu instid0(VALU_DEP_4) | instskip(SKIP_1) | instid1(VALU_DEP_4)
	v_dual_mul_f32 v31, v60, v23 :: v_dual_sub_f32 v24, v9, v25
	v_mul_f32_e32 v23, v59, v23
	v_dual_mul_f32 v19, v55, v19 :: v_dual_sub_f32 v4, v42, v4
	s_delay_alu instid0(VALU_DEP_4) | instskip(NEXT) | instid1(VALU_DEP_3)
	v_sub_f32_e32 v6, v10, v6
	v_fmac_f32_e32 v23, v60, v22
	v_mul_f32_e32 v13, v49, v13
	s_delay_alu instid0(VALU_DEP_4) | instskip(NEXT) | instid1(VALU_DEP_4)
	v_fmac_f32_e32 v19, v56, v18
	v_fma_f32 v10, v10, 2.0, -v6
	s_delay_alu instid0(VALU_DEP_3) | instskip(SKIP_1) | instid1(VALU_DEP_1)
	v_fmac_f32_e32 v13, v50, v12
	v_fma_f32 v12, v51, v14, -v82
	v_dual_sub_f32 v12, v28, v12 :: v_dual_fmac_f32 v3, v2, v39
	v_dual_mul_f32 v2, v58, v21 :: v_dual_mul_f32 v39, v64, v27
	v_mul_f32_e32 v27, v63, v27
	s_delay_alu instid0(VALU_DEP_2) | instskip(SKIP_1) | instid1(VALU_DEP_3)
	v_fma_f32 v2, v57, v20, -v2
	v_mul_f32_e32 v21, v57, v21
	v_fmac_f32_e32 v27, v64, v26
	s_delay_alu instid0(VALU_DEP_3) | instskip(NEXT) | instid1(VALU_DEP_3)
	v_sub_f32_e32 v2, v38, v2
	v_fmac_f32_e32 v21, v58, v20
	v_fma_f32 v20, v63, v26, -v39
	v_mul_f32_e32 v83, v54, v17
	v_fma_f32 v26, v28, 2.0, -v12
	s_delay_alu instid0(VALU_DEP_3) | instskip(NEXT) | instid1(VALU_DEP_3)
	v_sub_f32_e32 v20, v8, v20
	v_fma_f32 v14, v53, v16, -v83
	v_mul_f32_e32 v17, v53, v17
	s_delay_alu instid0(VALU_DEP_3) | instskip(NEXT) | instid1(VALU_DEP_3)
	v_fma_f32 v8, v8, 2.0, -v20
	v_sub_f32_e32 v14, v30, v14
	s_delay_alu instid0(VALU_DEP_3) | instskip(SKIP_4) | instid1(VALU_DEP_4)
	v_fmac_f32_e32 v17, v54, v16
	v_fma_f32 v16, v55, v18, -v84
	v_fma_f32 v18, v59, v22, -v31
	v_fma_f32 v31, v38, 2.0, -v2
	v_mul_f32_e32 v41, v65, v68
	v_sub_f32_e32 v16, v0, v16
	s_delay_alu instid0(VALU_DEP_4) | instskip(NEXT) | instid1(VALU_DEP_4)
	v_sub_f32_e32 v18, v40, v18
	v_sub_f32_e32 v10, v31, v10
	s_delay_alu instid0(VALU_DEP_3) | instskip(NEXT) | instid1(VALU_DEP_3)
	v_fma_f32 v0, v0, 2.0, -v16
	v_fma_f32 v28, v40, 2.0, -v18
	v_dual_add_f32 v18, v15, v18 :: v_dual_sub_f32 v21, v5, v21
	s_delay_alu instid0(VALU_DEP_3) | instskip(SKIP_1) | instid1(VALU_DEP_4)
	v_sub_f32_e32 v8, v0, v8
	v_sub_f32_e32 v22, v7, v23
	;; [unrolled: 1-line block ×3, first 2 shown]
	s_delay_alu instid0(VALU_DEP_4)
	v_dual_add_f32 v6, v21, v6 :: v_dual_sub_f32 v23, v11, v27
	v_fma_f32 v27, v29, 2.0, -v15
	v_fma_f32 v29, v30, 2.0, -v14
	;; [unrolled: 1-line block ×5, first 2 shown]
	v_fmac_f32_e32 v41, v66, v67
	v_fma_f32 v7, v7, 2.0, -v22
	v_sub_f32_e32 v30, v29, v30
	v_sub_f32_e32 v22, v12, v22
	v_fma_f32 v11, v11, 2.0, -v23
	v_sub_f32_e32 v25, v13, v41
	v_sub_f32_e32 v23, v16, v23
	v_fma_f32 v26, v26, 2.0, -v28
	v_fma_f32 v0, v0, 2.0, -v8
	;; [unrolled: 1-line block ×4, first 2 shown]
	v_fmamk_f32 v38, v23, 0x3f3504f3, v22
	v_fma_f32 v9, v9, 2.0, -v24
	v_sub_f32_e32 v24, v14, v24
	v_fma_f32 v16, v16, 2.0, -v23
	v_sub_f32_e32 v13, v5, v13
	v_fma_f32 v29, v29, 2.0, -v30
	s_delay_alu instid0(VALU_DEP_4) | instskip(NEXT) | instid1(VALU_DEP_3)
	v_fma_f32 v14, v14, 2.0, -v24
	v_fma_f32 v5, v5, 2.0, -v13
	v_sub_f32_e32 v13, v30, v13
	v_sub_f32_e32 v19, v3, v19
	s_delay_alu instid0(VALU_DEP_1) | instskip(NEXT) | instid1(VALU_DEP_1)
	v_fma_f32 v3, v3, 2.0, -v19
	v_sub_f32_e32 v11, v3, v11
	s_delay_alu instid0(VALU_DEP_1) | instskip(SKIP_1) | instid1(VALU_DEP_2)
	v_sub_f32_e32 v44, v28, v11
	v_fma_f32 v3, v3, 2.0, -v11
	v_fma_f32 v28, v28, 2.0, -v44
	v_sub_f32_e32 v17, v1, v17
	s_delay_alu instid0(VALU_DEP_1) | instskip(SKIP_1) | instid1(VALU_DEP_2)
	v_fma_f32 v1, v1, 2.0, -v17
	v_add_f32_e32 v4, v17, v4
	v_sub_f32_e32 v9, v1, v9
	s_delay_alu instid0(VALU_DEP_2) | instskip(SKIP_1) | instid1(VALU_DEP_3)
	v_fmamk_f32 v41, v6, 0x3f3504f3, v4
	v_fma_f32 v17, v17, 2.0, -v4
	v_add_f32_e32 v47, v9, v10
	v_sub_f32_e32 v25, v2, v25
	v_fma_f32 v42, v1, 2.0, -v9
	v_fma_f32 v1, v31, 2.0, -v10
	v_fmamk_f32 v31, v16, 0xbf3504f3, v12
	s_delay_alu instid0(VALU_DEP_4) | instskip(SKIP_4) | instid1(VALU_DEP_3)
	v_fma_f32 v2, v2, 2.0, -v25
	v_dual_fmamk_f32 v40, v25, 0x3f3504f3, v24 :: v_dual_fmac_f32 v41, 0x3f3504f3, v25
	v_sub_f32_e32 v7, v27, v7
	v_dual_sub_f32 v25, v26, v0 :: v_dual_fmamk_f32 v0, v13, 0x3f3504f3, v44
	v_add_f32_e32 v20, v19, v20
	v_dual_fmac_f32 v40, 0xbf3504f3, v6 :: v_dual_add_f32 v45, v7, v8
	v_sub_f32_e32 v8, v42, v5
	v_fma_f32 v15, v15, 2.0, -v18
	s_delay_alu instid0(VALU_DEP_4) | instskip(SKIP_3) | instid1(VALU_DEP_4)
	v_fma_f32 v19, v19, 2.0, -v20
	v_fmamk_f32 v39, v20, 0x3f3504f3, v18
	v_fmac_f32_e32 v38, 0xbf3504f3, v20
	v_fmamk_f32 v20, v2, 0xbf3504f3, v14
	v_dual_sub_f32 v10, v29, v1 :: v_dual_fmamk_f32 v43, v19, 0xbf3504f3, v15
	v_fmac_f32_e32 v31, 0xbf3504f3, v19
	s_delay_alu instid0(VALU_DEP_4) | instskip(NEXT) | instid1(VALU_DEP_4)
	v_fma_f32 v22, v22, 2.0, -v38
	v_fmac_f32_e32 v20, 0xbf3504f3, v21
	v_fma_f32 v19, v24, 2.0, -v40
	v_fmac_f32_e32 v43, 0x3f3504f3, v16
	v_fma_f32 v16, v30, 2.0, -v13
	v_fma_f32 v24, v26, 2.0, -v25
	s_delay_alu instid0(VALU_DEP_4) | instskip(NEXT) | instid1(VALU_DEP_4)
	v_fmamk_f32 v6, v19, 0xbec3ef15, v22
	v_fma_f32 v30, v15, 2.0, -v43
	v_fma_f32 v15, v42, 2.0, -v8
	v_dual_sub_f32 v8, v25, v8 :: v_dual_fmac_f32 v39, 0x3f3504f3, v23
	v_fmamk_f32 v23, v21, 0xbf3504f3, v17
	v_fma_f32 v21, v4, 2.0, -v41
	v_fmamk_f32 v4, v16, 0xbf3504f3, v28
	s_delay_alu instid0(VALU_DEP_4) | instskip(NEXT) | instid1(VALU_DEP_4)
	v_fma_f32 v50, v18, 2.0, -v39
	v_fmac_f32_e32 v23, 0x3f3504f3, v2
	v_fmamk_f32 v2, v40, 0x3f6c835e, v38
	v_fmac_f32_e32 v6, 0xbf6c835e, v21
	v_fma_f32 v18, v9, 2.0, -v47
	v_fmac_f32_e32 v0, 0xbf3504f3, v47
	v_fma_f32 v42, v17, 2.0, -v23
	;; [unrolled: 2-line block ×3, first 2 shown]
	v_fmamk_f32 v11, v23, 0x3ec3ef15, v43
	v_fmac_f32_e32 v4, 0xbf3504f3, v18
	v_fma_f32 v22, v22, 2.0, -v6
	s_delay_alu instid0(VALU_DEP_4) | instskip(NEXT) | instid1(VALU_DEP_4)
	v_dual_sub_f32 v48, v27, v3 :: v_dual_fmamk_f32 v3, v41, 0x3f6c835e, v39
	v_fmac_f32_e32 v11, 0x3f6c835e, v20
	s_delay_alu instid0(VALU_DEP_2)
	v_fma_f32 v26, v27, 2.0, -v48
	v_fma_f32 v27, v12, 2.0, -v31
	;; [unrolled: 1-line block ×4, first 2 shown]
	v_add_f32_e32 v9, v48, v10
	v_fmamk_f32 v10, v20, 0x3ec3ef15, v31
	v_fmac_f32_e32 v3, 0x3ec3ef15, v40
	v_sub_f32_e32 v12, v24, v12
	v_fmamk_f32 v14, v29, 0xbf6c835e, v27
	v_fma_f32 v49, v7, 2.0, -v45
	v_fmamk_f32 v1, v47, 0x3f3504f3, v45
	v_fmamk_f32 v7, v21, 0xbec3ef15, v50
	v_fmac_f32_e32 v10, 0xbf6c835e, v23
	v_fmac_f32_e32 v14, 0xbec3ef15, v42
	v_fmamk_f32 v5, v18, 0xbf3504f3, v49
	v_fmac_f32_e32 v1, 0x3f3504f3, v13
	v_sub_f32_e32 v13, v26, v15
	v_fmamk_f32 v15, v42, 0xbf6c835e, v30
	v_fmac_f32_e32 v7, 0x3f6c835e, v19
	v_fmac_f32_e32 v5, 0x3f3504f3, v16
	v_fma_f32 v18, v44, 2.0, -v0
	v_fma_f32 v19, v45, 2.0, -v1
	;; [unrolled: 1-line block ×4, first 2 shown]
	v_fmac_f32_e32 v15, 0x3ec3ef15, v29
	ds_store_2addr_b64 v74, v[0:1], v[2:3] offset0:86 offset1:211
	v_fma_f32 v2, v28, 2.0, -v4
	v_fma_f32 v3, v49, 2.0, -v5
	v_fma_f32 v23, v50, 2.0, -v7
	v_fma_f32 v16, v25, 2.0, -v8
	v_fma_f32 v17, v48, 2.0, -v9
	v_fma_f32 v0, v24, 2.0, -v12
	v_fma_f32 v24, v31, 2.0, -v10
	v_fma_f32 v25, v43, 2.0, -v11
	v_fma_f32 v1, v26, 2.0, -v13
	ds_store_2addr_b64 v70, v[18:19], v[20:21] offset0:110 offset1:235
	ds_store_2addr_b64 v72, v[4:5], v[6:7] offset0:98 offset1:223
	v_fma_f32 v4, v27, 2.0, -v14
	v_fma_f32 v5, v30, 2.0, -v15
	ds_store_2addr_b64 v73, v[8:9], v[10:11] offset0:92 offset1:217
	ds_store_2addr_b64 v35, v[2:3], v[22:23] offset0:122 offset1:247
	;; [unrolled: 1-line block ×4, first 2 shown]
	ds_store_2addr_b64 v46, v[0:1], v[4:5] offset1:125
	global_wb scope:SCOPE_SE
	s_wait_dscnt 0x0
	s_barrier_signal -1
	s_barrier_wait -1
	global_inv scope:SCOPE_SE
	s_and_saveexec_b32 s0, vcc_lo
	s_cbranch_execz .LBB0_31
; %bb.30:
	v_mul_lo_u32 v0, s3, v36
	v_mul_lo_u32 v1, s2, v37
	v_mad_co_u64_u32 v[4:5], null, s2, v36, 0
	v_dual_mov_b32 v35, 0 :: v_dual_add_nc_u32 v8, 0x7d, v34
	v_lshl_add_u32 v28, v34, 3, 0
	v_lshlrev_b64_e32 v[6:7], 3, v[32:33]
	s_delay_alu instid0(VALU_DEP_3) | instskip(SKIP_1) | instid1(VALU_DEP_4)
	v_dual_mov_b32 v9, v35 :: v_dual_add_nc_u32 v10, 0xfa, v34
	v_add3_u32 v5, v5, v1, v0
	v_dual_mov_b32 v11, v35 :: v_dual_add_nc_u32 v14, 0x400, v28
	ds_load_2addr_b64 v[0:3], v28 offset1:125
	v_lshlrev_b64_e32 v[12:13], 3, v[34:35]
	v_lshlrev_b64_e32 v[4:5], 3, v[4:5]
	;; [unrolled: 1-line block ×4, first 2 shown]
	v_dual_mov_b32 v17, v35 :: v_dual_add_nc_u32 v16, 0x1f4, v34
	v_add_nc_u32_e32 v18, 0xc00, v28
	v_add_co_u32 v4, vcc_lo, s6, v4
	s_wait_alu 0xfffd
	v_add_co_ci_u32_e32 v5, vcc_lo, s7, v5, vcc_lo
	v_add_nc_u32_e32 v20, 0x1c00, v28
	s_delay_alu instid0(VALU_DEP_3) | instskip(SKIP_1) | instid1(VALU_DEP_3)
	v_add_co_u32 v32, vcc_lo, v4, v6
	s_wait_alu 0xfffd
	v_add_co_ci_u32_e32 v33, vcc_lo, v5, v7, vcc_lo
	ds_load_2addr_b64 v[4:7], v14 offset0:122 offset1:247
	v_dual_mov_b32 v15, v35 :: v_dual_add_nc_u32 v14, 0x177, v34
	v_add_co_u32 v12, vcc_lo, v32, v12
	s_wait_alu 0xfffd
	v_add_co_ci_u32_e32 v13, vcc_lo, v33, v13, vcc_lo
	v_add_co_u32 v8, vcc_lo, v32, v8
	v_lshlrev_b64_e32 v[14:15], 3, v[14:15]
	s_wait_alu 0xfffd
	v_add_co_ci_u32_e32 v9, vcc_lo, v33, v9, vcc_lo
	v_add_co_u32 v10, vcc_lo, v32, v10
	s_wait_alu 0xfffd
	v_add_co_ci_u32_e32 v11, vcc_lo, v33, v11, vcc_lo
	v_add_co_u32 v14, vcc_lo, v32, v14
	s_wait_alu 0xfffd
	v_add_co_ci_u32_e32 v15, vcc_lo, v33, v15, vcc_lo
	s_wait_dscnt 0x1
	s_clause 0x1
	global_store_b64 v[12:13], v[0:1], off
	global_store_b64 v[8:9], v[2:3], off
	s_wait_dscnt 0x0
	s_clause 0x1
	global_store_b64 v[10:11], v[4:5], off
	global_store_b64 v[14:15], v[6:7], off
	v_lshlrev_b64_e32 v[4:5], 3, v[16:17]
	v_dual_mov_b32 v9, v35 :: v_dual_add_nc_u32 v6, 0x271, v34
	v_dual_mov_b32 v7, v35 :: v_dual_add_nc_u32 v14, 0x1400, v28
	v_mov_b32_e32 v19, v35
	ds_load_2addr_b64 v[0:3], v18 offset0:116 offset1:241
	v_add_co_u32 v10, vcc_lo, v32, v4
	v_dual_mov_b32 v15, v35 :: v_dual_add_nc_u32 v8, 0x2ee, v34
	s_wait_alu 0xfffd
	v_add_co_ci_u32_e32 v11, vcc_lo, v33, v5, vcc_lo
	v_lshlrev_b64_e32 v[12:13], 3, v[6:7]
	ds_load_2addr_b64 v[4:7], v14 offset0:110 offset1:235
	v_add_nc_u32_e32 v14, 0x36b, v34
	v_lshlrev_b64_e32 v[8:9], 3, v[8:9]
	v_add_nc_u32_e32 v16, 0x3e8, v34
	v_add_nc_u32_e32 v18, 0x465, v34
	v_add_co_u32 v12, vcc_lo, v32, v12
	v_lshlrev_b64_e32 v[14:15], 3, v[14:15]
	s_wait_alu 0xfffd
	v_add_co_ci_u32_e32 v13, vcc_lo, v33, v13, vcc_lo
	v_add_co_u32 v8, vcc_lo, v32, v8
	s_wait_alu 0xfffd
	v_add_co_ci_u32_e32 v9, vcc_lo, v33, v9, vcc_lo
	v_add_co_u32 v14, vcc_lo, v32, v14
	s_wait_alu 0xfffd
	v_add_co_ci_u32_e32 v15, vcc_lo, v33, v15, vcc_lo
	s_wait_dscnt 0x1
	s_clause 0x1
	global_store_b64 v[10:11], v[0:1], off
	global_store_b64 v[12:13], v[2:3], off
	s_wait_dscnt 0x0
	s_clause 0x1
	global_store_b64 v[8:9], v[4:5], off
	global_store_b64 v[14:15], v[6:7], off
	v_mov_b32_e32 v15, v35
	v_mov_b32_e32 v11, v35
	v_lshlrev_b64_e32 v[4:5], 3, v[16:17]
	v_dual_mov_b32 v27, v35 :: v_dual_add_nc_u32 v8, 0x4e2, v34
	v_mov_b32_e32 v9, v35
	v_lshlrev_b64_e32 v[6:7], 3, v[18:19]
	v_add_nc_u32_e32 v10, 0x55f, v34
	v_add_co_u32 v16, vcc_lo, v32, v4
	s_delay_alu instid0(VALU_DEP_4)
	v_lshlrev_b64_e32 v[8:9], 3, v[8:9]
	s_wait_alu 0xfffd
	v_add_co_ci_u32_e32 v17, vcc_lo, v33, v5, vcc_lo
	v_add_co_u32 v18, vcc_lo, v32, v6
	s_wait_alu 0xfffd
	v_add_co_ci_u32_e32 v19, vcc_lo, v33, v7, vcc_lo
	v_dual_mov_b32 v13, v35 :: v_dual_add_nc_u32 v12, 0x5dc, v34
	ds_load_2addr_b64 v[0:3], v20 offset0:104 offset1:229
	v_add_co_u32 v20, vcc_lo, v32, v8
	s_wait_alu 0xfffd
	v_add_co_ci_u32_e32 v21, vcc_lo, v33, v9, vcc_lo
	v_lshlrev_b64_e32 v[8:9], 3, v[10:11]
	v_add_nc_u32_e32 v14, 0x659, v34
	v_add_nc_u32_e32 v4, 0x2400, v28
	v_lshlrev_b64_e32 v[12:13], 3, v[12:13]
	v_add_nc_u32_e32 v10, 0x2c00, v28
	v_add_nc_u32_e32 v26, 0x6d6, v34
	v_add_co_u32 v22, vcc_lo, v32, v8
	v_lshlrev_b64_e32 v[24:25], 3, v[14:15]
	v_add_nc_u32_e32 v14, 0x3400, v28
	ds_load_2addr_b64 v[4:7], v4 offset0:98 offset1:223
	s_wait_alu 0xfffd
	v_add_co_ci_u32_e32 v23, vcc_lo, v33, v9, vcc_lo
	ds_load_2addr_b64 v[8:11], v10 offset0:92 offset1:217
	v_add_co_u32 v28, vcc_lo, v32, v12
	s_wait_alu 0xfffd
	v_add_co_ci_u32_e32 v29, vcc_lo, v33, v13, vcc_lo
	ds_load_2addr_b64 v[12:15], v14 offset0:86 offset1:211
	v_add_nc_u32_e32 v34, 0x753, v34
	v_lshlrev_b64_e32 v[26:27], 3, v[26:27]
	v_add_co_u32 v24, vcc_lo, v32, v24
	s_wait_alu 0xfffd
	v_add_co_ci_u32_e32 v25, vcc_lo, v33, v25, vcc_lo
	v_lshlrev_b64_e32 v[30:31], 3, v[34:35]
	s_delay_alu instid0(VALU_DEP_4) | instskip(SKIP_2) | instid1(VALU_DEP_3)
	v_add_co_u32 v26, vcc_lo, v32, v26
	s_wait_alu 0xfffd
	v_add_co_ci_u32_e32 v27, vcc_lo, v33, v27, vcc_lo
	v_add_co_u32 v30, vcc_lo, v32, v30
	s_wait_alu 0xfffd
	v_add_co_ci_u32_e32 v31, vcc_lo, v33, v31, vcc_lo
	s_wait_dscnt 0x3
	s_clause 0x1
	global_store_b64 v[16:17], v[0:1], off
	global_store_b64 v[18:19], v[2:3], off
	s_wait_dscnt 0x2
	s_clause 0x1
	global_store_b64 v[20:21], v[4:5], off
	global_store_b64 v[22:23], v[6:7], off
	s_wait_dscnt 0x1
	s_clause 0x1
	global_store_b64 v[28:29], v[8:9], off
	global_store_b64 v[24:25], v[10:11], off
	s_wait_dscnt 0x0
	s_clause 0x1
	global_store_b64 v[26:27], v[12:13], off
	global_store_b64 v[30:31], v[14:15], off
.LBB0_31:
	s_nop 0
	s_sendmsg sendmsg(MSG_DEALLOC_VGPRS)
	s_endpgm
	.section	.rodata,"a",@progbits
	.p2align	6, 0x0
	.amdhsa_kernel fft_rtc_fwd_len2000_factors_5_5_5_16_wgs_125_tpt_125_halfLds_sp_op_CI_CI_unitstride_sbrr_C2R_dirReg
		.amdhsa_group_segment_fixed_size 0
		.amdhsa_private_segment_fixed_size 0
		.amdhsa_kernarg_size 104
		.amdhsa_user_sgpr_count 2
		.amdhsa_user_sgpr_dispatch_ptr 0
		.amdhsa_user_sgpr_queue_ptr 0
		.amdhsa_user_sgpr_kernarg_segment_ptr 1
		.amdhsa_user_sgpr_dispatch_id 0
		.amdhsa_user_sgpr_private_segment_size 0
		.amdhsa_wavefront_size32 1
		.amdhsa_uses_dynamic_stack 0
		.amdhsa_enable_private_segment 0
		.amdhsa_system_sgpr_workgroup_id_x 1
		.amdhsa_system_sgpr_workgroup_id_y 0
		.amdhsa_system_sgpr_workgroup_id_z 0
		.amdhsa_system_sgpr_workgroup_info 0
		.amdhsa_system_vgpr_workitem_id 0
		.amdhsa_next_free_vgpr 102
		.amdhsa_next_free_sgpr 39
		.amdhsa_reserve_vcc 1
		.amdhsa_float_round_mode_32 0
		.amdhsa_float_round_mode_16_64 0
		.amdhsa_float_denorm_mode_32 3
		.amdhsa_float_denorm_mode_16_64 3
		.amdhsa_fp16_overflow 0
		.amdhsa_workgroup_processor_mode 1
		.amdhsa_memory_ordered 1
		.amdhsa_forward_progress 0
		.amdhsa_round_robin_scheduling 0
		.amdhsa_exception_fp_ieee_invalid_op 0
		.amdhsa_exception_fp_denorm_src 0
		.amdhsa_exception_fp_ieee_div_zero 0
		.amdhsa_exception_fp_ieee_overflow 0
		.amdhsa_exception_fp_ieee_underflow 0
		.amdhsa_exception_fp_ieee_inexact 0
		.amdhsa_exception_int_div_zero 0
	.end_amdhsa_kernel
	.text
.Lfunc_end0:
	.size	fft_rtc_fwd_len2000_factors_5_5_5_16_wgs_125_tpt_125_halfLds_sp_op_CI_CI_unitstride_sbrr_C2R_dirReg, .Lfunc_end0-fft_rtc_fwd_len2000_factors_5_5_5_16_wgs_125_tpt_125_halfLds_sp_op_CI_CI_unitstride_sbrr_C2R_dirReg
                                        ; -- End function
	.section	.AMDGPU.csdata,"",@progbits
; Kernel info:
; codeLenInByte = 12644
; NumSgprs: 41
; NumVgprs: 102
; ScratchSize: 0
; MemoryBound: 0
; FloatMode: 240
; IeeeMode: 1
; LDSByteSize: 0 bytes/workgroup (compile time only)
; SGPRBlocks: 5
; VGPRBlocks: 12
; NumSGPRsForWavesPerEU: 41
; NumVGPRsForWavesPerEU: 102
; Occupancy: 12
; WaveLimiterHint : 1
; COMPUTE_PGM_RSRC2:SCRATCH_EN: 0
; COMPUTE_PGM_RSRC2:USER_SGPR: 2
; COMPUTE_PGM_RSRC2:TRAP_HANDLER: 0
; COMPUTE_PGM_RSRC2:TGID_X_EN: 1
; COMPUTE_PGM_RSRC2:TGID_Y_EN: 0
; COMPUTE_PGM_RSRC2:TGID_Z_EN: 0
; COMPUTE_PGM_RSRC2:TIDIG_COMP_CNT: 0
	.text
	.p2alignl 7, 3214868480
	.fill 96, 4, 3214868480
	.type	__hip_cuid_9fa5f7f31565ffd2,@object ; @__hip_cuid_9fa5f7f31565ffd2
	.section	.bss,"aw",@nobits
	.globl	__hip_cuid_9fa5f7f31565ffd2
__hip_cuid_9fa5f7f31565ffd2:
	.byte	0                               ; 0x0
	.size	__hip_cuid_9fa5f7f31565ffd2, 1

	.ident	"AMD clang version 19.0.0git (https://github.com/RadeonOpenCompute/llvm-project roc-6.4.0 25133 c7fe45cf4b819c5991fe208aaa96edf142730f1d)"
	.section	".note.GNU-stack","",@progbits
	.addrsig
	.addrsig_sym __hip_cuid_9fa5f7f31565ffd2
	.amdgpu_metadata
---
amdhsa.kernels:
  - .args:
      - .actual_access:  read_only
        .address_space:  global
        .offset:         0
        .size:           8
        .value_kind:     global_buffer
      - .offset:         8
        .size:           8
        .value_kind:     by_value
      - .actual_access:  read_only
        .address_space:  global
        .offset:         16
        .size:           8
        .value_kind:     global_buffer
      - .actual_access:  read_only
        .address_space:  global
        .offset:         24
        .size:           8
        .value_kind:     global_buffer
      - .actual_access:  read_only
        .address_space:  global
        .offset:         32
        .size:           8
        .value_kind:     global_buffer
      - .offset:         40
        .size:           8
        .value_kind:     by_value
      - .actual_access:  read_only
        .address_space:  global
        .offset:         48
        .size:           8
        .value_kind:     global_buffer
      - .actual_access:  read_only
        .address_space:  global
        .offset:         56
        .size:           8
        .value_kind:     global_buffer
      - .offset:         64
        .size:           4
        .value_kind:     by_value
      - .actual_access:  read_only
        .address_space:  global
        .offset:         72
        .size:           8
        .value_kind:     global_buffer
      - .actual_access:  read_only
        .address_space:  global
        .offset:         80
        .size:           8
        .value_kind:     global_buffer
      - .actual_access:  read_only
        .address_space:  global
        .offset:         88
        .size:           8
        .value_kind:     global_buffer
      - .actual_access:  write_only
        .address_space:  global
        .offset:         96
        .size:           8
        .value_kind:     global_buffer
    .group_segment_fixed_size: 0
    .kernarg_segment_align: 8
    .kernarg_segment_size: 104
    .language:       OpenCL C
    .language_version:
      - 2
      - 0
    .max_flat_workgroup_size: 125
    .name:           fft_rtc_fwd_len2000_factors_5_5_5_16_wgs_125_tpt_125_halfLds_sp_op_CI_CI_unitstride_sbrr_C2R_dirReg
    .private_segment_fixed_size: 0
    .sgpr_count:     41
    .sgpr_spill_count: 0
    .symbol:         fft_rtc_fwd_len2000_factors_5_5_5_16_wgs_125_tpt_125_halfLds_sp_op_CI_CI_unitstride_sbrr_C2R_dirReg.kd
    .uniform_work_group_size: 1
    .uses_dynamic_stack: false
    .vgpr_count:     102
    .vgpr_spill_count: 0
    .wavefront_size: 32
    .workgroup_processor_mode: 1
amdhsa.target:   amdgcn-amd-amdhsa--gfx1201
amdhsa.version:
  - 1
  - 2
...

	.end_amdgpu_metadata
